;; amdgpu-corpus repo=ROCm/rocSPARSE kind=compiled arch=gfx906 opt=O3
	.amdgcn_target "amdgcn-amd-amdhsa--gfx906"
	.amdhsa_code_object_version 6
	.section	.text._ZN9rocsparseL19kernel_ptr_end_unitILj1024EiiEEvT1_PKT0_PKS1_PS2_21rocsparse_index_base_,"axG",@progbits,_ZN9rocsparseL19kernel_ptr_end_unitILj1024EiiEEvT1_PKT0_PKS1_PS2_21rocsparse_index_base_,comdat
	.globl	_ZN9rocsparseL19kernel_ptr_end_unitILj1024EiiEEvT1_PKT0_PKS1_PS2_21rocsparse_index_base_ ; -- Begin function _ZN9rocsparseL19kernel_ptr_end_unitILj1024EiiEEvT1_PKT0_PKS1_PS2_21rocsparse_index_base_
	.p2align	8
	.type	_ZN9rocsparseL19kernel_ptr_end_unitILj1024EiiEEvT1_PKT0_PKS1_PS2_21rocsparse_index_base_,@function
_ZN9rocsparseL19kernel_ptr_end_unitILj1024EiiEEvT1_PKT0_PKS1_PS2_21rocsparse_index_base_: ; @_ZN9rocsparseL19kernel_ptr_end_unitILj1024EiiEEvT1_PKT0_PKS1_PS2_21rocsparse_index_base_
; %bb.0:
	s_load_dword s0, s[4:5], 0x0
	v_lshl_or_b32 v0, s6, 10, v0
	s_waitcnt lgkmcnt(0)
	v_cmp_gt_i32_e32 vcc, s0, v0
	s_and_saveexec_b64 s[0:1], vcc
	s_cbranch_execz .LBB0_8
; %bb.1:
	s_load_dwordx2 s[0:1], s[4:5], 0x8
	s_load_dwordx2 s[2:3], s[4:5], 0x18
	v_ashrrev_i32_e32 v1, 31, v0
	v_lshlrev_b64 v[1:2], 2, v[0:1]
	s_waitcnt lgkmcnt(0)
	v_mov_b32_e32 v4, s1
	v_add_co_u32_e32 v3, vcc, s0, v1
	v_addc_co_u32_e32 v4, vcc, v4, v2, vcc
	global_load_dwordx2 v[3:4], v[3:4], off
	v_mov_b32_e32 v5, s3
	v_add_co_u32_e32 v1, vcc, s2, v1
	v_addc_co_u32_e32 v2, vcc, v5, v2, vcc
	s_waitcnt vmcnt(0)
	v_cmp_lt_i32_e32 vcc, v3, v4
	global_store_dword v[1:2], v4, off
	s_and_b64 exec, exec, vcc
	s_cbranch_execz .LBB0_8
; %bb.2:
	s_load_dword s10, s[4:5], 0x20
	s_load_dwordx2 s[0:1], s[4:5], 0x10
                                        ; implicit-def: $sgpr2_sgpr3
                                        ; implicit-def: $sgpr6_sgpr7
                                        ; implicit-def: $sgpr4_sgpr5
	s_waitcnt lgkmcnt(0)
	v_subrev_u32_e32 v5, s10, v3
	v_ashrrev_i32_e32 v6, 31, v5
	v_subrev_u32_e32 v7, s10, v4
	v_lshlrev_b64 v[3:4], 2, v[5:6]
	v_mov_b32_e32 v8, s1
	v_add_co_u32_e32 v3, vcc, s0, v3
	v_addc_co_u32_e32 v4, vcc, v8, v4, vcc
	s_mov_b64 s[0:1], 0
	s_branch .LBB0_4
.LBB0_3:                                ;   in Loop: Header=BB0_4 Depth=1
	s_or_b64 exec, exec, s[8:9]
	s_and_b64 s[8:9], exec, s[6:7]
	s_or_b64 s[0:1], s[8:9], s[0:1]
	s_andn2_b64 s[2:3], s[2:3], exec
	s_and_b64 s[8:9], s[4:5], exec
	s_or_b64 s[2:3], s[2:3], s[8:9]
	s_andn2_b64 exec, exec, s[0:1]
	s_cbranch_execz .LBB0_6
.LBB0_4:                                ; =>This Inner Loop Header: Depth=1
	global_load_dword v8, v[3:4], off
	v_mov_b32_e32 v6, v5
	s_or_b64 s[4:5], s[4:5], exec
	s_or_b64 s[6:7], s[6:7], exec
	s_waitcnt vmcnt(0)
	v_subrev_u32_e32 v5, s10, v8
	v_cmp_lt_i32_e32 vcc, v5, v0
                                        ; implicit-def: $vgpr5
	s_and_saveexec_b64 s[8:9], vcc
	s_cbranch_execz .LBB0_3
; %bb.5:                                ;   in Loop: Header=BB0_4 Depth=1
	v_add_co_u32_e32 v3, vcc, 4, v3
	v_add_u32_e32 v5, 1, v6
	v_addc_co_u32_e32 v4, vcc, 0, v4, vcc
	v_cmp_ge_i32_e32 vcc, v5, v7
	s_andn2_b64 s[6:7], s[6:7], exec
	s_and_b64 s[12:13], vcc, exec
	s_andn2_b64 s[4:5], s[4:5], exec
	s_or_b64 s[6:7], s[6:7], s[12:13]
	s_branch .LBB0_3
.LBB0_6:
	s_or_b64 exec, exec, s[0:1]
	s_and_saveexec_b64 s[0:1], s[2:3]
	s_xor_b64 s[0:1], exec, s[0:1]
	s_cbranch_execz .LBB0_8
; %bb.7:
	v_add_u32_e32 v0, s10, v6
	global_store_dword v[1:2], v0, off
.LBB0_8:
	s_endpgm
	.section	.rodata,"a",@progbits
	.p2align	6, 0x0
	.amdhsa_kernel _ZN9rocsparseL19kernel_ptr_end_unitILj1024EiiEEvT1_PKT0_PKS1_PS2_21rocsparse_index_base_
		.amdhsa_group_segment_fixed_size 0
		.amdhsa_private_segment_fixed_size 0
		.amdhsa_kernarg_size 36
		.amdhsa_user_sgpr_count 6
		.amdhsa_user_sgpr_private_segment_buffer 1
		.amdhsa_user_sgpr_dispatch_ptr 0
		.amdhsa_user_sgpr_queue_ptr 0
		.amdhsa_user_sgpr_kernarg_segment_ptr 1
		.amdhsa_user_sgpr_dispatch_id 0
		.amdhsa_user_sgpr_flat_scratch_init 0
		.amdhsa_user_sgpr_private_segment_size 0
		.amdhsa_uses_dynamic_stack 0
		.amdhsa_system_sgpr_private_segment_wavefront_offset 0
		.amdhsa_system_sgpr_workgroup_id_x 1
		.amdhsa_system_sgpr_workgroup_id_y 0
		.amdhsa_system_sgpr_workgroup_id_z 0
		.amdhsa_system_sgpr_workgroup_info 0
		.amdhsa_system_vgpr_workitem_id 0
		.amdhsa_next_free_vgpr 9
		.amdhsa_next_free_sgpr 14
		.amdhsa_reserve_vcc 1
		.amdhsa_reserve_flat_scratch 0
		.amdhsa_float_round_mode_32 0
		.amdhsa_float_round_mode_16_64 0
		.amdhsa_float_denorm_mode_32 3
		.amdhsa_float_denorm_mode_16_64 3
		.amdhsa_dx10_clamp 1
		.amdhsa_ieee_mode 1
		.amdhsa_fp16_overflow 0
		.amdhsa_exception_fp_ieee_invalid_op 0
		.amdhsa_exception_fp_denorm_src 0
		.amdhsa_exception_fp_ieee_div_zero 0
		.amdhsa_exception_fp_ieee_overflow 0
		.amdhsa_exception_fp_ieee_underflow 0
		.amdhsa_exception_fp_ieee_inexact 0
		.amdhsa_exception_int_div_zero 0
	.end_amdhsa_kernel
	.section	.text._ZN9rocsparseL19kernel_ptr_end_unitILj1024EiiEEvT1_PKT0_PKS1_PS2_21rocsparse_index_base_,"axG",@progbits,_ZN9rocsparseL19kernel_ptr_end_unitILj1024EiiEEvT1_PKT0_PKS1_PS2_21rocsparse_index_base_,comdat
.Lfunc_end0:
	.size	_ZN9rocsparseL19kernel_ptr_end_unitILj1024EiiEEvT1_PKT0_PKS1_PS2_21rocsparse_index_base_, .Lfunc_end0-_ZN9rocsparseL19kernel_ptr_end_unitILj1024EiiEEvT1_PKT0_PKS1_PS2_21rocsparse_index_base_
                                        ; -- End function
	.set _ZN9rocsparseL19kernel_ptr_end_unitILj1024EiiEEvT1_PKT0_PKS1_PS2_21rocsparse_index_base_.num_vgpr, 9
	.set _ZN9rocsparseL19kernel_ptr_end_unitILj1024EiiEEvT1_PKT0_PKS1_PS2_21rocsparse_index_base_.num_agpr, 0
	.set _ZN9rocsparseL19kernel_ptr_end_unitILj1024EiiEEvT1_PKT0_PKS1_PS2_21rocsparse_index_base_.numbered_sgpr, 14
	.set _ZN9rocsparseL19kernel_ptr_end_unitILj1024EiiEEvT1_PKT0_PKS1_PS2_21rocsparse_index_base_.num_named_barrier, 0
	.set _ZN9rocsparseL19kernel_ptr_end_unitILj1024EiiEEvT1_PKT0_PKS1_PS2_21rocsparse_index_base_.private_seg_size, 0
	.set _ZN9rocsparseL19kernel_ptr_end_unitILj1024EiiEEvT1_PKT0_PKS1_PS2_21rocsparse_index_base_.uses_vcc, 1
	.set _ZN9rocsparseL19kernel_ptr_end_unitILj1024EiiEEvT1_PKT0_PKS1_PS2_21rocsparse_index_base_.uses_flat_scratch, 0
	.set _ZN9rocsparseL19kernel_ptr_end_unitILj1024EiiEEvT1_PKT0_PKS1_PS2_21rocsparse_index_base_.has_dyn_sized_stack, 0
	.set _ZN9rocsparseL19kernel_ptr_end_unitILj1024EiiEEvT1_PKT0_PKS1_PS2_21rocsparse_index_base_.has_recursion, 0
	.set _ZN9rocsparseL19kernel_ptr_end_unitILj1024EiiEEvT1_PKT0_PKS1_PS2_21rocsparse_index_base_.has_indirect_call, 0
	.section	.AMDGPU.csdata,"",@progbits
; Kernel info:
; codeLenInByte = 320
; TotalNumSgprs: 18
; NumVgprs: 9
; ScratchSize: 0
; MemoryBound: 0
; FloatMode: 240
; IeeeMode: 1
; LDSByteSize: 0 bytes/workgroup (compile time only)
; SGPRBlocks: 2
; VGPRBlocks: 2
; NumSGPRsForWavesPerEU: 18
; NumVGPRsForWavesPerEU: 9
; Occupancy: 10
; WaveLimiterHint : 0
; COMPUTE_PGM_RSRC2:SCRATCH_EN: 0
; COMPUTE_PGM_RSRC2:USER_SGPR: 6
; COMPUTE_PGM_RSRC2:TRAP_HANDLER: 0
; COMPUTE_PGM_RSRC2:TGID_X_EN: 1
; COMPUTE_PGM_RSRC2:TGID_Y_EN: 0
; COMPUTE_PGM_RSRC2:TGID_Z_EN: 0
; COMPUTE_PGM_RSRC2:TIDIG_COMP_CNT: 0
	.section	.text._ZN9rocsparseL23kernel_ptr_end_non_unitILj1024EiiEEvT1_PKT0_PKS1_PS2_21rocsparse_index_base_,"axG",@progbits,_ZN9rocsparseL23kernel_ptr_end_non_unitILj1024EiiEEvT1_PKT0_PKS1_PS2_21rocsparse_index_base_,comdat
	.globl	_ZN9rocsparseL23kernel_ptr_end_non_unitILj1024EiiEEvT1_PKT0_PKS1_PS2_21rocsparse_index_base_ ; -- Begin function _ZN9rocsparseL23kernel_ptr_end_non_unitILj1024EiiEEvT1_PKT0_PKS1_PS2_21rocsparse_index_base_
	.p2align	8
	.type	_ZN9rocsparseL23kernel_ptr_end_non_unitILj1024EiiEEvT1_PKT0_PKS1_PS2_21rocsparse_index_base_,@function
_ZN9rocsparseL23kernel_ptr_end_non_unitILj1024EiiEEvT1_PKT0_PKS1_PS2_21rocsparse_index_base_: ; @_ZN9rocsparseL23kernel_ptr_end_non_unitILj1024EiiEEvT1_PKT0_PKS1_PS2_21rocsparse_index_base_
; %bb.0:
	s_load_dword s0, s[4:5], 0x0
	v_lshl_or_b32 v0, s6, 10, v0
	s_waitcnt lgkmcnt(0)
	v_cmp_gt_u32_e32 vcc, s0, v0
	s_and_saveexec_b64 s[0:1], vcc
	s_cbranch_execz .LBB1_8
; %bb.1:
	s_load_dwordx2 s[0:1], s[4:5], 0x8
	s_load_dwordx2 s[2:3], s[4:5], 0x18
	v_mov_b32_e32 v1, 0
	v_lshlrev_b64 v[1:2], 2, v[0:1]
	s_waitcnt lgkmcnt(0)
	v_mov_b32_e32 v4, s1
	v_add_co_u32_e32 v3, vcc, s0, v1
	v_addc_co_u32_e32 v4, vcc, v4, v2, vcc
	global_load_dwordx2 v[3:4], v[3:4], off
	v_mov_b32_e32 v5, s3
	v_add_co_u32_e32 v1, vcc, s2, v1
	v_addc_co_u32_e32 v2, vcc, v5, v2, vcc
	s_waitcnt vmcnt(0)
	v_cmp_lt_i32_e32 vcc, v3, v4
	global_store_dword v[1:2], v4, off
	s_and_b64 exec, exec, vcc
	s_cbranch_execz .LBB1_8
; %bb.2:
	s_load_dword s10, s[4:5], 0x20
	s_load_dwordx2 s[0:1], s[4:5], 0x10
                                        ; implicit-def: $sgpr2_sgpr3
                                        ; implicit-def: $sgpr6_sgpr7
                                        ; implicit-def: $sgpr4_sgpr5
	s_waitcnt lgkmcnt(0)
	v_subrev_u32_e32 v5, s10, v3
	v_ashrrev_i32_e32 v6, 31, v5
	v_subrev_u32_e32 v7, s10, v4
	v_lshlrev_b64 v[3:4], 2, v[5:6]
	v_mov_b32_e32 v8, s1
	v_add_co_u32_e32 v3, vcc, s0, v3
	v_addc_co_u32_e32 v4, vcc, v8, v4, vcc
	s_mov_b64 s[0:1], 0
	s_branch .LBB1_4
.LBB1_3:                                ;   in Loop: Header=BB1_4 Depth=1
	s_or_b64 exec, exec, s[8:9]
	s_and_b64 s[8:9], exec, s[6:7]
	s_or_b64 s[0:1], s[8:9], s[0:1]
	s_andn2_b64 s[2:3], s[2:3], exec
	s_and_b64 s[8:9], s[4:5], exec
	s_or_b64 s[2:3], s[2:3], s[8:9]
	s_andn2_b64 exec, exec, s[0:1]
	s_cbranch_execz .LBB1_6
.LBB1_4:                                ; =>This Inner Loop Header: Depth=1
	global_load_dword v8, v[3:4], off
	v_mov_b32_e32 v6, v5
	s_or_b64 s[4:5], s[4:5], exec
	s_or_b64 s[6:7], s[6:7], exec
	s_waitcnt vmcnt(0)
	v_subrev_u32_e32 v5, s10, v8
	v_cmp_le_u32_e32 vcc, v5, v0
                                        ; implicit-def: $vgpr5
	s_and_saveexec_b64 s[8:9], vcc
	s_cbranch_execz .LBB1_3
; %bb.5:                                ;   in Loop: Header=BB1_4 Depth=1
	v_add_co_u32_e32 v3, vcc, 4, v3
	v_add_u32_e32 v5, 1, v6
	v_addc_co_u32_e32 v4, vcc, 0, v4, vcc
	v_cmp_ge_i32_e32 vcc, v5, v7
	s_andn2_b64 s[6:7], s[6:7], exec
	s_and_b64 s[12:13], vcc, exec
	s_andn2_b64 s[4:5], s[4:5], exec
	s_or_b64 s[6:7], s[6:7], s[12:13]
	s_branch .LBB1_3
.LBB1_6:
	s_or_b64 exec, exec, s[0:1]
	s_and_saveexec_b64 s[0:1], s[2:3]
	s_xor_b64 s[0:1], exec, s[0:1]
	s_cbranch_execz .LBB1_8
; %bb.7:
	v_add_u32_e32 v0, s10, v6
	global_store_dword v[1:2], v0, off
.LBB1_8:
	s_endpgm
	.section	.rodata,"a",@progbits
	.p2align	6, 0x0
	.amdhsa_kernel _ZN9rocsparseL23kernel_ptr_end_non_unitILj1024EiiEEvT1_PKT0_PKS1_PS2_21rocsparse_index_base_
		.amdhsa_group_segment_fixed_size 0
		.amdhsa_private_segment_fixed_size 0
		.amdhsa_kernarg_size 36
		.amdhsa_user_sgpr_count 6
		.amdhsa_user_sgpr_private_segment_buffer 1
		.amdhsa_user_sgpr_dispatch_ptr 0
		.amdhsa_user_sgpr_queue_ptr 0
		.amdhsa_user_sgpr_kernarg_segment_ptr 1
		.amdhsa_user_sgpr_dispatch_id 0
		.amdhsa_user_sgpr_flat_scratch_init 0
		.amdhsa_user_sgpr_private_segment_size 0
		.amdhsa_uses_dynamic_stack 0
		.amdhsa_system_sgpr_private_segment_wavefront_offset 0
		.amdhsa_system_sgpr_workgroup_id_x 1
		.amdhsa_system_sgpr_workgroup_id_y 0
		.amdhsa_system_sgpr_workgroup_id_z 0
		.amdhsa_system_sgpr_workgroup_info 0
		.amdhsa_system_vgpr_workitem_id 0
		.amdhsa_next_free_vgpr 9
		.amdhsa_next_free_sgpr 14
		.amdhsa_reserve_vcc 1
		.amdhsa_reserve_flat_scratch 0
		.amdhsa_float_round_mode_32 0
		.amdhsa_float_round_mode_16_64 0
		.amdhsa_float_denorm_mode_32 3
		.amdhsa_float_denorm_mode_16_64 3
		.amdhsa_dx10_clamp 1
		.amdhsa_ieee_mode 1
		.amdhsa_fp16_overflow 0
		.amdhsa_exception_fp_ieee_invalid_op 0
		.amdhsa_exception_fp_denorm_src 0
		.amdhsa_exception_fp_ieee_div_zero 0
		.amdhsa_exception_fp_ieee_overflow 0
		.amdhsa_exception_fp_ieee_underflow 0
		.amdhsa_exception_fp_ieee_inexact 0
		.amdhsa_exception_int_div_zero 0
	.end_amdhsa_kernel
	.section	.text._ZN9rocsparseL23kernel_ptr_end_non_unitILj1024EiiEEvT1_PKT0_PKS1_PS2_21rocsparse_index_base_,"axG",@progbits,_ZN9rocsparseL23kernel_ptr_end_non_unitILj1024EiiEEvT1_PKT0_PKS1_PS2_21rocsparse_index_base_,comdat
.Lfunc_end1:
	.size	_ZN9rocsparseL23kernel_ptr_end_non_unitILj1024EiiEEvT1_PKT0_PKS1_PS2_21rocsparse_index_base_, .Lfunc_end1-_ZN9rocsparseL23kernel_ptr_end_non_unitILj1024EiiEEvT1_PKT0_PKS1_PS2_21rocsparse_index_base_
                                        ; -- End function
	.set _ZN9rocsparseL23kernel_ptr_end_non_unitILj1024EiiEEvT1_PKT0_PKS1_PS2_21rocsparse_index_base_.num_vgpr, 9
	.set _ZN9rocsparseL23kernel_ptr_end_non_unitILj1024EiiEEvT1_PKT0_PKS1_PS2_21rocsparse_index_base_.num_agpr, 0
	.set _ZN9rocsparseL23kernel_ptr_end_non_unitILj1024EiiEEvT1_PKT0_PKS1_PS2_21rocsparse_index_base_.numbered_sgpr, 14
	.set _ZN9rocsparseL23kernel_ptr_end_non_unitILj1024EiiEEvT1_PKT0_PKS1_PS2_21rocsparse_index_base_.num_named_barrier, 0
	.set _ZN9rocsparseL23kernel_ptr_end_non_unitILj1024EiiEEvT1_PKT0_PKS1_PS2_21rocsparse_index_base_.private_seg_size, 0
	.set _ZN9rocsparseL23kernel_ptr_end_non_unitILj1024EiiEEvT1_PKT0_PKS1_PS2_21rocsparse_index_base_.uses_vcc, 1
	.set _ZN9rocsparseL23kernel_ptr_end_non_unitILj1024EiiEEvT1_PKT0_PKS1_PS2_21rocsparse_index_base_.uses_flat_scratch, 0
	.set _ZN9rocsparseL23kernel_ptr_end_non_unitILj1024EiiEEvT1_PKT0_PKS1_PS2_21rocsparse_index_base_.has_dyn_sized_stack, 0
	.set _ZN9rocsparseL23kernel_ptr_end_non_unitILj1024EiiEEvT1_PKT0_PKS1_PS2_21rocsparse_index_base_.has_recursion, 0
	.set _ZN9rocsparseL23kernel_ptr_end_non_unitILj1024EiiEEvT1_PKT0_PKS1_PS2_21rocsparse_index_base_.has_indirect_call, 0
	.section	.AMDGPU.csdata,"",@progbits
; Kernel info:
; codeLenInByte = 320
; TotalNumSgprs: 18
; NumVgprs: 9
; ScratchSize: 0
; MemoryBound: 0
; FloatMode: 240
; IeeeMode: 1
; LDSByteSize: 0 bytes/workgroup (compile time only)
; SGPRBlocks: 2
; VGPRBlocks: 2
; NumSGPRsForWavesPerEU: 18
; NumVGPRsForWavesPerEU: 9
; Occupancy: 10
; WaveLimiterHint : 0
; COMPUTE_PGM_RSRC2:SCRATCH_EN: 0
; COMPUTE_PGM_RSRC2:USER_SGPR: 6
; COMPUTE_PGM_RSRC2:TRAP_HANDLER: 0
; COMPUTE_PGM_RSRC2:TGID_X_EN: 1
; COMPUTE_PGM_RSRC2:TGID_Y_EN: 0
; COMPUTE_PGM_RSRC2:TGID_Z_EN: 0
; COMPUTE_PGM_RSRC2:TIDIG_COMP_CNT: 0
	.section	.text._ZN9rocsparseL29kernel_count_missing_diagonalILj1024EiiEEvT1_PKT0_S1_PKS1_21rocsparse_index_base_PS1_Pi,"axG",@progbits,_ZN9rocsparseL29kernel_count_missing_diagonalILj1024EiiEEvT1_PKT0_S1_PKS1_21rocsparse_index_base_PS1_Pi,comdat
	.globl	_ZN9rocsparseL29kernel_count_missing_diagonalILj1024EiiEEvT1_PKT0_S1_PKS1_21rocsparse_index_base_PS1_Pi ; -- Begin function _ZN9rocsparseL29kernel_count_missing_diagonalILj1024EiiEEvT1_PKT0_S1_PKS1_21rocsparse_index_base_PS1_Pi
	.p2align	8
	.type	_ZN9rocsparseL29kernel_count_missing_diagonalILj1024EiiEEvT1_PKT0_S1_PKS1_21rocsparse_index_base_PS1_Pi,@function
_ZN9rocsparseL29kernel_count_missing_diagonalILj1024EiiEEvT1_PKT0_S1_PKS1_21rocsparse_index_base_PS1_Pi: ; @_ZN9rocsparseL29kernel_count_missing_diagonalILj1024EiiEEvT1_PKT0_S1_PKS1_21rocsparse_index_base_PS1_Pi
; %bb.0:
	s_load_dword s0, s[4:5], 0x0
	v_lshl_or_b32 v0, s6, 10, v0
	s_waitcnt lgkmcnt(0)
	v_cmp_gt_i32_e32 vcc, s0, v0
	s_and_saveexec_b64 s[0:1], vcc
	s_cbranch_execz .LBB2_8
; %bb.1:
	s_load_dwordx2 s[0:1], s[4:5], 0x8
	s_load_dword s8, s[4:5], 0x20
	s_load_dword s2, s[4:5], 0x10
	v_ashrrev_i32_e32 v1, 31, v0
	v_lshlrev_b64 v[1:2], 2, v[0:1]
	s_waitcnt lgkmcnt(0)
	v_mov_b32_e32 v3, s1
	v_add_co_u32_e32 v1, vcc, s0, v1
	v_addc_co_u32_e32 v2, vcc, v3, v2, vcc
	global_load_dword v1, v[1:2], off
	s_load_dwordx2 s[0:1], s[4:5], 0x18
	s_sub_i32 s2, s2, s8
	s_waitcnt lgkmcnt(0)
	v_mov_b32_e32 v3, s1
	s_waitcnt vmcnt(0)
	v_add_u32_e32 v1, s2, v1
	v_ashrrev_i32_e32 v2, 31, v1
	v_lshlrev_b64 v[1:2], 2, v[1:2]
	v_add_co_u32_e32 v1, vcc, s0, v1
	v_addc_co_u32_e32 v2, vcc, v3, v2, vcc
	global_load_dword v1, v[1:2], off
	s_waitcnt vmcnt(0)
	v_subrev_u32_e32 v1, s8, v1
	v_cmp_ne_u32_e32 vcc, v1, v0
	s_and_b64 exec, exec, vcc
	s_cbranch_execz .LBB2_8
; %bb.2:
	s_load_dwordx4 s[0:3], s[4:5], 0x28
	s_mov_b64 s[6:7], exec
	v_add_u32_e32 v0, s8, v0
	s_brev_b32 s8, -2
.LBB2_3:                                ; =>This Inner Loop Header: Depth=1
	s_ff1_i32_b64 s4, s[6:7]
	v_readlane_b32 s9, v0, s4
	s_lshl_b64 s[4:5], 1, s4
	s_min_i32 s8, s8, s9
	s_andn2_b64 s[6:7], s[6:7], s[4:5]
	s_cmp_lg_u64 s[6:7], 0
	s_cbranch_scc1 .LBB2_3
; %bb.4:
	v_mbcnt_lo_u32_b32 v0, exec_lo, 0
	v_mbcnt_hi_u32_b32 v0, exec_hi, v0
	v_cmp_eq_u32_e32 vcc, 0, v0
	s_and_saveexec_b64 s[4:5], vcc
	s_xor_b64 s[4:5], exec, s[4:5]
	s_cbranch_execz .LBB2_6
; %bb.5:
	v_mov_b32_e32 v0, 0
	v_mov_b32_e32 v1, s8
	s_waitcnt lgkmcnt(0)
	global_atomic_smin v0, v1, s[2:3]
.LBB2_6:
	s_or_b64 exec, exec, s[4:5]
	s_waitcnt lgkmcnt(0)
	s_mov_b64 s[2:3], exec
	v_mbcnt_lo_u32_b32 v0, s2, 0
	v_mbcnt_hi_u32_b32 v0, s3, v0
	v_cmp_eq_u32_e32 vcc, 0, v0
	s_and_b64 s[4:5], exec, vcc
	s_mov_b64 exec, s[4:5]
	s_cbranch_execz .LBB2_8
; %bb.7:
	s_bcnt1_i32_b64 s2, s[2:3]
	v_mov_b32_e32 v0, 0
	v_mov_b32_e32 v1, s2
	global_atomic_add v0, v1, s[0:1]
.LBB2_8:
	s_endpgm
	.section	.rodata,"a",@progbits
	.p2align	6, 0x0
	.amdhsa_kernel _ZN9rocsparseL29kernel_count_missing_diagonalILj1024EiiEEvT1_PKT0_S1_PKS1_21rocsparse_index_base_PS1_Pi
		.amdhsa_group_segment_fixed_size 0
		.amdhsa_private_segment_fixed_size 0
		.amdhsa_kernarg_size 56
		.amdhsa_user_sgpr_count 6
		.amdhsa_user_sgpr_private_segment_buffer 1
		.amdhsa_user_sgpr_dispatch_ptr 0
		.amdhsa_user_sgpr_queue_ptr 0
		.amdhsa_user_sgpr_kernarg_segment_ptr 1
		.amdhsa_user_sgpr_dispatch_id 0
		.amdhsa_user_sgpr_flat_scratch_init 0
		.amdhsa_user_sgpr_private_segment_size 0
		.amdhsa_uses_dynamic_stack 0
		.amdhsa_system_sgpr_private_segment_wavefront_offset 0
		.amdhsa_system_sgpr_workgroup_id_x 1
		.amdhsa_system_sgpr_workgroup_id_y 0
		.amdhsa_system_sgpr_workgroup_id_z 0
		.amdhsa_system_sgpr_workgroup_info 0
		.amdhsa_system_vgpr_workitem_id 0
		.amdhsa_next_free_vgpr 4
		.amdhsa_next_free_sgpr 10
		.amdhsa_reserve_vcc 1
		.amdhsa_reserve_flat_scratch 0
		.amdhsa_float_round_mode_32 0
		.amdhsa_float_round_mode_16_64 0
		.amdhsa_float_denorm_mode_32 3
		.amdhsa_float_denorm_mode_16_64 3
		.amdhsa_dx10_clamp 1
		.amdhsa_ieee_mode 1
		.amdhsa_fp16_overflow 0
		.amdhsa_exception_fp_ieee_invalid_op 0
		.amdhsa_exception_fp_denorm_src 0
		.amdhsa_exception_fp_ieee_div_zero 0
		.amdhsa_exception_fp_ieee_overflow 0
		.amdhsa_exception_fp_ieee_underflow 0
		.amdhsa_exception_fp_ieee_inexact 0
		.amdhsa_exception_int_div_zero 0
	.end_amdhsa_kernel
	.section	.text._ZN9rocsparseL29kernel_count_missing_diagonalILj1024EiiEEvT1_PKT0_S1_PKS1_21rocsparse_index_base_PS1_Pi,"axG",@progbits,_ZN9rocsparseL29kernel_count_missing_diagonalILj1024EiiEEvT1_PKT0_S1_PKS1_21rocsparse_index_base_PS1_Pi,comdat
.Lfunc_end2:
	.size	_ZN9rocsparseL29kernel_count_missing_diagonalILj1024EiiEEvT1_PKT0_S1_PKS1_21rocsparse_index_base_PS1_Pi, .Lfunc_end2-_ZN9rocsparseL29kernel_count_missing_diagonalILj1024EiiEEvT1_PKT0_S1_PKS1_21rocsparse_index_base_PS1_Pi
                                        ; -- End function
	.set _ZN9rocsparseL29kernel_count_missing_diagonalILj1024EiiEEvT1_PKT0_S1_PKS1_21rocsparse_index_base_PS1_Pi.num_vgpr, 4
	.set _ZN9rocsparseL29kernel_count_missing_diagonalILj1024EiiEEvT1_PKT0_S1_PKS1_21rocsparse_index_base_PS1_Pi.num_agpr, 0
	.set _ZN9rocsparseL29kernel_count_missing_diagonalILj1024EiiEEvT1_PKT0_S1_PKS1_21rocsparse_index_base_PS1_Pi.numbered_sgpr, 10
	.set _ZN9rocsparseL29kernel_count_missing_diagonalILj1024EiiEEvT1_PKT0_S1_PKS1_21rocsparse_index_base_PS1_Pi.num_named_barrier, 0
	.set _ZN9rocsparseL29kernel_count_missing_diagonalILj1024EiiEEvT1_PKT0_S1_PKS1_21rocsparse_index_base_PS1_Pi.private_seg_size, 0
	.set _ZN9rocsparseL29kernel_count_missing_diagonalILj1024EiiEEvT1_PKT0_S1_PKS1_21rocsparse_index_base_PS1_Pi.uses_vcc, 1
	.set _ZN9rocsparseL29kernel_count_missing_diagonalILj1024EiiEEvT1_PKT0_S1_PKS1_21rocsparse_index_base_PS1_Pi.uses_flat_scratch, 0
	.set _ZN9rocsparseL29kernel_count_missing_diagonalILj1024EiiEEvT1_PKT0_S1_PKS1_21rocsparse_index_base_PS1_Pi.has_dyn_sized_stack, 0
	.set _ZN9rocsparseL29kernel_count_missing_diagonalILj1024EiiEEvT1_PKT0_S1_PKS1_21rocsparse_index_base_PS1_Pi.has_recursion, 0
	.set _ZN9rocsparseL29kernel_count_missing_diagonalILj1024EiiEEvT1_PKT0_S1_PKS1_21rocsparse_index_base_PS1_Pi.has_indirect_call, 0
	.section	.AMDGPU.csdata,"",@progbits
; Kernel info:
; codeLenInByte = 340
; TotalNumSgprs: 14
; NumVgprs: 4
; ScratchSize: 0
; MemoryBound: 0
; FloatMode: 240
; IeeeMode: 1
; LDSByteSize: 0 bytes/workgroup (compile time only)
; SGPRBlocks: 1
; VGPRBlocks: 0
; NumSGPRsForWavesPerEU: 14
; NumVGPRsForWavesPerEU: 4
; Occupancy: 10
; WaveLimiterHint : 1
; COMPUTE_PGM_RSRC2:SCRATCH_EN: 0
; COMPUTE_PGM_RSRC2:USER_SGPR: 6
; COMPUTE_PGM_RSRC2:TRAP_HANDLER: 0
; COMPUTE_PGM_RSRC2:TGID_X_EN: 1
; COMPUTE_PGM_RSRC2:TGID_Y_EN: 0
; COMPUTE_PGM_RSRC2:TGID_Z_EN: 0
; COMPUTE_PGM_RSRC2:TIDIG_COMP_CNT: 0
	.section	.text._ZN9rocsparseL30kernel_count_missing_diagonal2IL20rocsparse_fill_mode_0ELj1024EiiEEvT2_PKT1_PKS2_21rocsparse_index_base_PS2_Pi,"axG",@progbits,_ZN9rocsparseL30kernel_count_missing_diagonal2IL20rocsparse_fill_mode_0ELj1024EiiEEvT2_PKT1_PKS2_21rocsparse_index_base_PS2_Pi,comdat
	.globl	_ZN9rocsparseL30kernel_count_missing_diagonal2IL20rocsparse_fill_mode_0ELj1024EiiEEvT2_PKT1_PKS2_21rocsparse_index_base_PS2_Pi ; -- Begin function _ZN9rocsparseL30kernel_count_missing_diagonal2IL20rocsparse_fill_mode_0ELj1024EiiEEvT2_PKT1_PKS2_21rocsparse_index_base_PS2_Pi
	.p2align	8
	.type	_ZN9rocsparseL30kernel_count_missing_diagonal2IL20rocsparse_fill_mode_0ELj1024EiiEEvT2_PKT1_PKS2_21rocsparse_index_base_PS2_Pi,@function
_ZN9rocsparseL30kernel_count_missing_diagonal2IL20rocsparse_fill_mode_0ELj1024EiiEEvT2_PKT1_PKS2_21rocsparse_index_base_PS2_Pi: ; @_ZN9rocsparseL30kernel_count_missing_diagonal2IL20rocsparse_fill_mode_0ELj1024EiiEEvT2_PKT1_PKS2_21rocsparse_index_base_PS2_Pi
; %bb.0:
	s_load_dword s0, s[4:5], 0x0
	v_lshl_or_b32 v0, s6, 10, v0
	s_waitcnt lgkmcnt(0)
	v_cmp_gt_i32_e32 vcc, s0, v0
	s_and_saveexec_b64 s[0:1], vcc
	s_cbranch_execz .LBB3_8
; %bb.1:
	s_load_dwordx4 s[0:3], s[4:5], 0x8
	s_load_dword s8, s[4:5], 0x18
	v_ashrrev_i32_e32 v1, 31, v0
	v_lshlrev_b64 v[1:2], 2, v[0:1]
	s_waitcnt lgkmcnt(0)
	v_mov_b32_e32 v3, s1
	v_add_co_u32_e32 v1, vcc, s0, v1
	v_addc_co_u32_e32 v2, vcc, v3, v2, vcc
	global_load_dword v1, v[1:2], off offset:4
	v_mov_b32_e32 v3, s3
	s_waitcnt vmcnt(0)
	v_xad_u32 v1, s8, -1, v1
	v_ashrrev_i32_e32 v2, 31, v1
	v_lshlrev_b64 v[1:2], 2, v[1:2]
	v_add_co_u32_e32 v1, vcc, s2, v1
	v_addc_co_u32_e32 v2, vcc, v3, v2, vcc
	global_load_dword v1, v[1:2], off
	s_waitcnt vmcnt(0)
	v_subrev_u32_e32 v1, s8, v1
	v_cmp_ne_u32_e32 vcc, v1, v0
	s_and_b64 exec, exec, vcc
	s_cbranch_execz .LBB3_8
; %bb.2:
	s_load_dwordx4 s[0:3], s[4:5], 0x20
	s_mov_b64 s[6:7], exec
	v_add_u32_e32 v0, s8, v0
	s_brev_b32 s8, -2
.LBB3_3:                                ; =>This Inner Loop Header: Depth=1
	s_ff1_i32_b64 s4, s[6:7]
	v_readlane_b32 s9, v0, s4
	s_lshl_b64 s[4:5], 1, s4
	s_min_i32 s8, s8, s9
	s_andn2_b64 s[6:7], s[6:7], s[4:5]
	s_cmp_lg_u64 s[6:7], 0
	s_cbranch_scc1 .LBB3_3
; %bb.4:
	v_mbcnt_lo_u32_b32 v0, exec_lo, 0
	v_mbcnt_hi_u32_b32 v0, exec_hi, v0
	v_cmp_eq_u32_e32 vcc, 0, v0
	s_and_saveexec_b64 s[4:5], vcc
	s_xor_b64 s[4:5], exec, s[4:5]
	s_cbranch_execz .LBB3_6
; %bb.5:
	v_mov_b32_e32 v0, 0
	v_mov_b32_e32 v1, s8
	s_waitcnt lgkmcnt(0)
	global_atomic_smin v0, v1, s[2:3]
.LBB3_6:
	s_or_b64 exec, exec, s[4:5]
	s_waitcnt lgkmcnt(0)
	s_mov_b64 s[2:3], exec
	v_mbcnt_lo_u32_b32 v0, s2, 0
	v_mbcnt_hi_u32_b32 v0, s3, v0
	v_cmp_eq_u32_e32 vcc, 0, v0
	s_and_b64 s[4:5], exec, vcc
	s_mov_b64 exec, s[4:5]
	s_cbranch_execz .LBB3_8
; %bb.7:
	s_bcnt1_i32_b64 s2, s[2:3]
	v_mov_b32_e32 v0, 0
	v_mov_b32_e32 v1, s2
	global_atomic_add v0, v1, s[0:1]
.LBB3_8:
	s_endpgm
	.section	.rodata,"a",@progbits
	.p2align	6, 0x0
	.amdhsa_kernel _ZN9rocsparseL30kernel_count_missing_diagonal2IL20rocsparse_fill_mode_0ELj1024EiiEEvT2_PKT1_PKS2_21rocsparse_index_base_PS2_Pi
		.amdhsa_group_segment_fixed_size 0
		.amdhsa_private_segment_fixed_size 0
		.amdhsa_kernarg_size 48
		.amdhsa_user_sgpr_count 6
		.amdhsa_user_sgpr_private_segment_buffer 1
		.amdhsa_user_sgpr_dispatch_ptr 0
		.amdhsa_user_sgpr_queue_ptr 0
		.amdhsa_user_sgpr_kernarg_segment_ptr 1
		.amdhsa_user_sgpr_dispatch_id 0
		.amdhsa_user_sgpr_flat_scratch_init 0
		.amdhsa_user_sgpr_private_segment_size 0
		.amdhsa_uses_dynamic_stack 0
		.amdhsa_system_sgpr_private_segment_wavefront_offset 0
		.amdhsa_system_sgpr_workgroup_id_x 1
		.amdhsa_system_sgpr_workgroup_id_y 0
		.amdhsa_system_sgpr_workgroup_id_z 0
		.amdhsa_system_sgpr_workgroup_info 0
		.amdhsa_system_vgpr_workitem_id 0
		.amdhsa_next_free_vgpr 4
		.amdhsa_next_free_sgpr 10
		.amdhsa_reserve_vcc 1
		.amdhsa_reserve_flat_scratch 0
		.amdhsa_float_round_mode_32 0
		.amdhsa_float_round_mode_16_64 0
		.amdhsa_float_denorm_mode_32 3
		.amdhsa_float_denorm_mode_16_64 3
		.amdhsa_dx10_clamp 1
		.amdhsa_ieee_mode 1
		.amdhsa_fp16_overflow 0
		.amdhsa_exception_fp_ieee_invalid_op 0
		.amdhsa_exception_fp_denorm_src 0
		.amdhsa_exception_fp_ieee_div_zero 0
		.amdhsa_exception_fp_ieee_overflow 0
		.amdhsa_exception_fp_ieee_underflow 0
		.amdhsa_exception_fp_ieee_inexact 0
		.amdhsa_exception_int_div_zero 0
	.end_amdhsa_kernel
	.section	.text._ZN9rocsparseL30kernel_count_missing_diagonal2IL20rocsparse_fill_mode_0ELj1024EiiEEvT2_PKT1_PKS2_21rocsparse_index_base_PS2_Pi,"axG",@progbits,_ZN9rocsparseL30kernel_count_missing_diagonal2IL20rocsparse_fill_mode_0ELj1024EiiEEvT2_PKT1_PKS2_21rocsparse_index_base_PS2_Pi,comdat
.Lfunc_end3:
	.size	_ZN9rocsparseL30kernel_count_missing_diagonal2IL20rocsparse_fill_mode_0ELj1024EiiEEvT2_PKT1_PKS2_21rocsparse_index_base_PS2_Pi, .Lfunc_end3-_ZN9rocsparseL30kernel_count_missing_diagonal2IL20rocsparse_fill_mode_0ELj1024EiiEEvT2_PKT1_PKS2_21rocsparse_index_base_PS2_Pi
                                        ; -- End function
	.set _ZN9rocsparseL30kernel_count_missing_diagonal2IL20rocsparse_fill_mode_0ELj1024EiiEEvT2_PKT1_PKS2_21rocsparse_index_base_PS2_Pi.num_vgpr, 4
	.set _ZN9rocsparseL30kernel_count_missing_diagonal2IL20rocsparse_fill_mode_0ELj1024EiiEEvT2_PKT1_PKS2_21rocsparse_index_base_PS2_Pi.num_agpr, 0
	.set _ZN9rocsparseL30kernel_count_missing_diagonal2IL20rocsparse_fill_mode_0ELj1024EiiEEvT2_PKT1_PKS2_21rocsparse_index_base_PS2_Pi.numbered_sgpr, 10
	.set _ZN9rocsparseL30kernel_count_missing_diagonal2IL20rocsparse_fill_mode_0ELj1024EiiEEvT2_PKT1_PKS2_21rocsparse_index_base_PS2_Pi.num_named_barrier, 0
	.set _ZN9rocsparseL30kernel_count_missing_diagonal2IL20rocsparse_fill_mode_0ELj1024EiiEEvT2_PKT1_PKS2_21rocsparse_index_base_PS2_Pi.private_seg_size, 0
	.set _ZN9rocsparseL30kernel_count_missing_diagonal2IL20rocsparse_fill_mode_0ELj1024EiiEEvT2_PKT1_PKS2_21rocsparse_index_base_PS2_Pi.uses_vcc, 1
	.set _ZN9rocsparseL30kernel_count_missing_diagonal2IL20rocsparse_fill_mode_0ELj1024EiiEEvT2_PKT1_PKS2_21rocsparse_index_base_PS2_Pi.uses_flat_scratch, 0
	.set _ZN9rocsparseL30kernel_count_missing_diagonal2IL20rocsparse_fill_mode_0ELj1024EiiEEvT2_PKT1_PKS2_21rocsparse_index_base_PS2_Pi.has_dyn_sized_stack, 0
	.set _ZN9rocsparseL30kernel_count_missing_diagonal2IL20rocsparse_fill_mode_0ELj1024EiiEEvT2_PKT1_PKS2_21rocsparse_index_base_PS2_Pi.has_recursion, 0
	.set _ZN9rocsparseL30kernel_count_missing_diagonal2IL20rocsparse_fill_mode_0ELj1024EiiEEvT2_PKT1_PKS2_21rocsparse_index_base_PS2_Pi.has_indirect_call, 0
	.section	.AMDGPU.csdata,"",@progbits
; Kernel info:
; codeLenInByte = 320
; TotalNumSgprs: 14
; NumVgprs: 4
; ScratchSize: 0
; MemoryBound: 0
; FloatMode: 240
; IeeeMode: 1
; LDSByteSize: 0 bytes/workgroup (compile time only)
; SGPRBlocks: 1
; VGPRBlocks: 0
; NumSGPRsForWavesPerEU: 14
; NumVGPRsForWavesPerEU: 4
; Occupancy: 10
; WaveLimiterHint : 1
; COMPUTE_PGM_RSRC2:SCRATCH_EN: 0
; COMPUTE_PGM_RSRC2:USER_SGPR: 6
; COMPUTE_PGM_RSRC2:TRAP_HANDLER: 0
; COMPUTE_PGM_RSRC2:TGID_X_EN: 1
; COMPUTE_PGM_RSRC2:TGID_Y_EN: 0
; COMPUTE_PGM_RSRC2:TGID_Z_EN: 0
; COMPUTE_PGM_RSRC2:TIDIG_COMP_CNT: 0
	.section	.text._ZN9rocsparseL30kernel_count_missing_diagonal2IL20rocsparse_fill_mode_1ELj1024EiiEEvT2_PKT1_PKS2_21rocsparse_index_base_PS2_Pi,"axG",@progbits,_ZN9rocsparseL30kernel_count_missing_diagonal2IL20rocsparse_fill_mode_1ELj1024EiiEEvT2_PKT1_PKS2_21rocsparse_index_base_PS2_Pi,comdat
	.globl	_ZN9rocsparseL30kernel_count_missing_diagonal2IL20rocsparse_fill_mode_1ELj1024EiiEEvT2_PKT1_PKS2_21rocsparse_index_base_PS2_Pi ; -- Begin function _ZN9rocsparseL30kernel_count_missing_diagonal2IL20rocsparse_fill_mode_1ELj1024EiiEEvT2_PKT1_PKS2_21rocsparse_index_base_PS2_Pi
	.p2align	8
	.type	_ZN9rocsparseL30kernel_count_missing_diagonal2IL20rocsparse_fill_mode_1ELj1024EiiEEvT2_PKT1_PKS2_21rocsparse_index_base_PS2_Pi,@function
_ZN9rocsparseL30kernel_count_missing_diagonal2IL20rocsparse_fill_mode_1ELj1024EiiEEvT2_PKT1_PKS2_21rocsparse_index_base_PS2_Pi: ; @_ZN9rocsparseL30kernel_count_missing_diagonal2IL20rocsparse_fill_mode_1ELj1024EiiEEvT2_PKT1_PKS2_21rocsparse_index_base_PS2_Pi
; %bb.0:
	s_load_dword s0, s[4:5], 0x0
	v_lshl_or_b32 v0, s6, 10, v0
	s_waitcnt lgkmcnt(0)
	v_cmp_gt_i32_e32 vcc, s0, v0
	s_and_saveexec_b64 s[0:1], vcc
	s_cbranch_execz .LBB4_8
; %bb.1:
	s_load_dwordx4 s[0:3], s[4:5], 0x8
	s_load_dword s8, s[4:5], 0x18
	v_ashrrev_i32_e32 v1, 31, v0
	v_lshlrev_b64 v[1:2], 2, v[0:1]
	s_waitcnt lgkmcnt(0)
	v_mov_b32_e32 v3, s1
	v_add_co_u32_e32 v1, vcc, s0, v1
	v_addc_co_u32_e32 v2, vcc, v3, v2, vcc
	global_load_dword v1, v[1:2], off
	v_mov_b32_e32 v3, s3
	s_waitcnt vmcnt(0)
	v_subrev_u32_e32 v1, s8, v1
	v_ashrrev_i32_e32 v2, 31, v1
	v_lshlrev_b64 v[1:2], 2, v[1:2]
	v_add_co_u32_e32 v1, vcc, s2, v1
	v_addc_co_u32_e32 v2, vcc, v3, v2, vcc
	global_load_dword v1, v[1:2], off
	s_waitcnt vmcnt(0)
	v_subrev_u32_e32 v1, s8, v1
	v_cmp_ne_u32_e32 vcc, v1, v0
	s_and_b64 exec, exec, vcc
	s_cbranch_execz .LBB4_8
; %bb.2:
	s_load_dwordx4 s[0:3], s[4:5], 0x20
	s_mov_b64 s[6:7], exec
	v_add_u32_e32 v0, s8, v0
	s_brev_b32 s8, -2
.LBB4_3:                                ; =>This Inner Loop Header: Depth=1
	s_ff1_i32_b64 s4, s[6:7]
	v_readlane_b32 s9, v0, s4
	s_lshl_b64 s[4:5], 1, s4
	s_min_i32 s8, s8, s9
	s_andn2_b64 s[6:7], s[6:7], s[4:5]
	s_cmp_lg_u64 s[6:7], 0
	s_cbranch_scc1 .LBB4_3
; %bb.4:
	v_mbcnt_lo_u32_b32 v0, exec_lo, 0
	v_mbcnt_hi_u32_b32 v0, exec_hi, v0
	v_cmp_eq_u32_e32 vcc, 0, v0
	s_and_saveexec_b64 s[4:5], vcc
	s_xor_b64 s[4:5], exec, s[4:5]
	s_cbranch_execz .LBB4_6
; %bb.5:
	v_mov_b32_e32 v0, 0
	v_mov_b32_e32 v1, s8
	s_waitcnt lgkmcnt(0)
	global_atomic_smin v0, v1, s[2:3]
.LBB4_6:
	s_or_b64 exec, exec, s[4:5]
	s_waitcnt lgkmcnt(0)
	s_mov_b64 s[2:3], exec
	v_mbcnt_lo_u32_b32 v0, s2, 0
	v_mbcnt_hi_u32_b32 v0, s3, v0
	v_cmp_eq_u32_e32 vcc, 0, v0
	s_and_b64 s[4:5], exec, vcc
	s_mov_b64 exec, s[4:5]
	s_cbranch_execz .LBB4_8
; %bb.7:
	s_bcnt1_i32_b64 s2, s[2:3]
	v_mov_b32_e32 v0, 0
	v_mov_b32_e32 v1, s2
	global_atomic_add v0, v1, s[0:1]
.LBB4_8:
	s_endpgm
	.section	.rodata,"a",@progbits
	.p2align	6, 0x0
	.amdhsa_kernel _ZN9rocsparseL30kernel_count_missing_diagonal2IL20rocsparse_fill_mode_1ELj1024EiiEEvT2_PKT1_PKS2_21rocsparse_index_base_PS2_Pi
		.amdhsa_group_segment_fixed_size 0
		.amdhsa_private_segment_fixed_size 0
		.amdhsa_kernarg_size 48
		.amdhsa_user_sgpr_count 6
		.amdhsa_user_sgpr_private_segment_buffer 1
		.amdhsa_user_sgpr_dispatch_ptr 0
		.amdhsa_user_sgpr_queue_ptr 0
		.amdhsa_user_sgpr_kernarg_segment_ptr 1
		.amdhsa_user_sgpr_dispatch_id 0
		.amdhsa_user_sgpr_flat_scratch_init 0
		.amdhsa_user_sgpr_private_segment_size 0
		.amdhsa_uses_dynamic_stack 0
		.amdhsa_system_sgpr_private_segment_wavefront_offset 0
		.amdhsa_system_sgpr_workgroup_id_x 1
		.amdhsa_system_sgpr_workgroup_id_y 0
		.amdhsa_system_sgpr_workgroup_id_z 0
		.amdhsa_system_sgpr_workgroup_info 0
		.amdhsa_system_vgpr_workitem_id 0
		.amdhsa_next_free_vgpr 4
		.amdhsa_next_free_sgpr 10
		.amdhsa_reserve_vcc 1
		.amdhsa_reserve_flat_scratch 0
		.amdhsa_float_round_mode_32 0
		.amdhsa_float_round_mode_16_64 0
		.amdhsa_float_denorm_mode_32 3
		.amdhsa_float_denorm_mode_16_64 3
		.amdhsa_dx10_clamp 1
		.amdhsa_ieee_mode 1
		.amdhsa_fp16_overflow 0
		.amdhsa_exception_fp_ieee_invalid_op 0
		.amdhsa_exception_fp_denorm_src 0
		.amdhsa_exception_fp_ieee_div_zero 0
		.amdhsa_exception_fp_ieee_overflow 0
		.amdhsa_exception_fp_ieee_underflow 0
		.amdhsa_exception_fp_ieee_inexact 0
		.amdhsa_exception_int_div_zero 0
	.end_amdhsa_kernel
	.section	.text._ZN9rocsparseL30kernel_count_missing_diagonal2IL20rocsparse_fill_mode_1ELj1024EiiEEvT2_PKT1_PKS2_21rocsparse_index_base_PS2_Pi,"axG",@progbits,_ZN9rocsparseL30kernel_count_missing_diagonal2IL20rocsparse_fill_mode_1ELj1024EiiEEvT2_PKT1_PKS2_21rocsparse_index_base_PS2_Pi,comdat
.Lfunc_end4:
	.size	_ZN9rocsparseL30kernel_count_missing_diagonal2IL20rocsparse_fill_mode_1ELj1024EiiEEvT2_PKT1_PKS2_21rocsparse_index_base_PS2_Pi, .Lfunc_end4-_ZN9rocsparseL30kernel_count_missing_diagonal2IL20rocsparse_fill_mode_1ELj1024EiiEEvT2_PKT1_PKS2_21rocsparse_index_base_PS2_Pi
                                        ; -- End function
	.set _ZN9rocsparseL30kernel_count_missing_diagonal2IL20rocsparse_fill_mode_1ELj1024EiiEEvT2_PKT1_PKS2_21rocsparse_index_base_PS2_Pi.num_vgpr, 4
	.set _ZN9rocsparseL30kernel_count_missing_diagonal2IL20rocsparse_fill_mode_1ELj1024EiiEEvT2_PKT1_PKS2_21rocsparse_index_base_PS2_Pi.num_agpr, 0
	.set _ZN9rocsparseL30kernel_count_missing_diagonal2IL20rocsparse_fill_mode_1ELj1024EiiEEvT2_PKT1_PKS2_21rocsparse_index_base_PS2_Pi.numbered_sgpr, 10
	.set _ZN9rocsparseL30kernel_count_missing_diagonal2IL20rocsparse_fill_mode_1ELj1024EiiEEvT2_PKT1_PKS2_21rocsparse_index_base_PS2_Pi.num_named_barrier, 0
	.set _ZN9rocsparseL30kernel_count_missing_diagonal2IL20rocsparse_fill_mode_1ELj1024EiiEEvT2_PKT1_PKS2_21rocsparse_index_base_PS2_Pi.private_seg_size, 0
	.set _ZN9rocsparseL30kernel_count_missing_diagonal2IL20rocsparse_fill_mode_1ELj1024EiiEEvT2_PKT1_PKS2_21rocsparse_index_base_PS2_Pi.uses_vcc, 1
	.set _ZN9rocsparseL30kernel_count_missing_diagonal2IL20rocsparse_fill_mode_1ELj1024EiiEEvT2_PKT1_PKS2_21rocsparse_index_base_PS2_Pi.uses_flat_scratch, 0
	.set _ZN9rocsparseL30kernel_count_missing_diagonal2IL20rocsparse_fill_mode_1ELj1024EiiEEvT2_PKT1_PKS2_21rocsparse_index_base_PS2_Pi.has_dyn_sized_stack, 0
	.set _ZN9rocsparseL30kernel_count_missing_diagonal2IL20rocsparse_fill_mode_1ELj1024EiiEEvT2_PKT1_PKS2_21rocsparse_index_base_PS2_Pi.has_recursion, 0
	.set _ZN9rocsparseL30kernel_count_missing_diagonal2IL20rocsparse_fill_mode_1ELj1024EiiEEvT2_PKT1_PKS2_21rocsparse_index_base_PS2_Pi.has_indirect_call, 0
	.section	.AMDGPU.csdata,"",@progbits
; Kernel info:
; codeLenInByte = 316
; TotalNumSgprs: 14
; NumVgprs: 4
; ScratchSize: 0
; MemoryBound: 0
; FloatMode: 240
; IeeeMode: 1
; LDSByteSize: 0 bytes/workgroup (compile time only)
; SGPRBlocks: 1
; VGPRBlocks: 0
; NumSGPRsForWavesPerEU: 14
; NumVGPRsForWavesPerEU: 4
; Occupancy: 10
; WaveLimiterHint : 1
; COMPUTE_PGM_RSRC2:SCRATCH_EN: 0
; COMPUTE_PGM_RSRC2:USER_SGPR: 6
; COMPUTE_PGM_RSRC2:TRAP_HANDLER: 0
; COMPUTE_PGM_RSRC2:TGID_X_EN: 1
; COMPUTE_PGM_RSRC2:TGID_Y_EN: 0
; COMPUTE_PGM_RSRC2:TGID_Z_EN: 0
; COMPUTE_PGM_RSRC2:TIDIG_COMP_CNT: 0
	.section	.text._ZN9rocsparseL32kernel_count_diagonal_triangularIL20rocsparse_fill_mode_0ELj1024EiiEEvT2_PKT1_PKS2_21rocsparse_index_base_PS2_,"axG",@progbits,_ZN9rocsparseL32kernel_count_diagonal_triangularIL20rocsparse_fill_mode_0ELj1024EiiEEvT2_PKT1_PKS2_21rocsparse_index_base_PS2_,comdat
	.globl	_ZN9rocsparseL32kernel_count_diagonal_triangularIL20rocsparse_fill_mode_0ELj1024EiiEEvT2_PKT1_PKS2_21rocsparse_index_base_PS2_ ; -- Begin function _ZN9rocsparseL32kernel_count_diagonal_triangularIL20rocsparse_fill_mode_0ELj1024EiiEEvT2_PKT1_PKS2_21rocsparse_index_base_PS2_
	.p2align	8
	.type	_ZN9rocsparseL32kernel_count_diagonal_triangularIL20rocsparse_fill_mode_0ELj1024EiiEEvT2_PKT1_PKS2_21rocsparse_index_base_PS2_,@function
_ZN9rocsparseL32kernel_count_diagonal_triangularIL20rocsparse_fill_mode_0ELj1024EiiEEvT2_PKT1_PKS2_21rocsparse_index_base_PS2_: ; @_ZN9rocsparseL32kernel_count_diagonal_triangularIL20rocsparse_fill_mode_0ELj1024EiiEEvT2_PKT1_PKS2_21rocsparse_index_base_PS2_
; %bb.0:
	s_load_dword s0, s[4:5], 0x0
	v_lshl_or_b32 v0, s6, 10, v0
	s_waitcnt lgkmcnt(0)
	v_cmp_gt_i32_e32 vcc, s0, v0
	s_and_saveexec_b64 s[0:1], vcc
	s_cbranch_execz .LBB5_4
; %bb.1:
	s_load_dwordx4 s[0:3], s[4:5], 0x8
	s_load_dword s6, s[4:5], 0x18
	v_ashrrev_i32_e32 v1, 31, v0
	v_lshlrev_b64 v[1:2], 2, v[0:1]
	s_waitcnt lgkmcnt(0)
	v_mov_b32_e32 v3, s1
	v_add_co_u32_e32 v1, vcc, s0, v1
	v_addc_co_u32_e32 v2, vcc, v3, v2, vcc
	global_load_dword v1, v[1:2], off offset:4
	v_mov_b32_e32 v3, s3
	s_waitcnt vmcnt(0)
	v_xad_u32 v1, s6, -1, v1
	v_ashrrev_i32_e32 v2, 31, v1
	v_lshlrev_b64 v[1:2], 2, v[1:2]
	v_add_co_u32_e32 v1, vcc, s2, v1
	v_addc_co_u32_e32 v2, vcc, v3, v2, vcc
	global_load_dword v1, v[1:2], off
	s_waitcnt vmcnt(0)
	v_subrev_u32_e32 v1, s6, v1
	v_cmp_eq_u32_e32 vcc, v1, v0
	s_and_b64 exec, exec, vcc
	s_cbranch_execz .LBB5_4
; %bb.2:
	s_mov_b64 s[0:1], exec
	v_mbcnt_lo_u32_b32 v0, s0, 0
	v_mbcnt_hi_u32_b32 v0, s1, v0
	v_cmp_eq_u32_e32 vcc, 0, v0
	s_and_b64 s[2:3], exec, vcc
	s_mov_b64 exec, s[2:3]
	s_cbranch_execz .LBB5_4
; %bb.3:
	s_load_dwordx2 s[2:3], s[4:5], 0x20
	s_bcnt1_i32_b64 s0, s[0:1]
	v_mov_b32_e32 v0, 0
	v_mov_b32_e32 v1, s0
	s_waitcnt lgkmcnt(0)
	global_atomic_add v0, v1, s[2:3]
.LBB5_4:
	s_endpgm
	.section	.rodata,"a",@progbits
	.p2align	6, 0x0
	.amdhsa_kernel _ZN9rocsparseL32kernel_count_diagonal_triangularIL20rocsparse_fill_mode_0ELj1024EiiEEvT2_PKT1_PKS2_21rocsparse_index_base_PS2_
		.amdhsa_group_segment_fixed_size 0
		.amdhsa_private_segment_fixed_size 0
		.amdhsa_kernarg_size 40
		.amdhsa_user_sgpr_count 6
		.amdhsa_user_sgpr_private_segment_buffer 1
		.amdhsa_user_sgpr_dispatch_ptr 0
		.amdhsa_user_sgpr_queue_ptr 0
		.amdhsa_user_sgpr_kernarg_segment_ptr 1
		.amdhsa_user_sgpr_dispatch_id 0
		.amdhsa_user_sgpr_flat_scratch_init 0
		.amdhsa_user_sgpr_private_segment_size 0
		.amdhsa_uses_dynamic_stack 0
		.amdhsa_system_sgpr_private_segment_wavefront_offset 0
		.amdhsa_system_sgpr_workgroup_id_x 1
		.amdhsa_system_sgpr_workgroup_id_y 0
		.amdhsa_system_sgpr_workgroup_id_z 0
		.amdhsa_system_sgpr_workgroup_info 0
		.amdhsa_system_vgpr_workitem_id 0
		.amdhsa_next_free_vgpr 4
		.amdhsa_next_free_sgpr 7
		.amdhsa_reserve_vcc 1
		.amdhsa_reserve_flat_scratch 0
		.amdhsa_float_round_mode_32 0
		.amdhsa_float_round_mode_16_64 0
		.amdhsa_float_denorm_mode_32 3
		.amdhsa_float_denorm_mode_16_64 3
		.amdhsa_dx10_clamp 1
		.amdhsa_ieee_mode 1
		.amdhsa_fp16_overflow 0
		.amdhsa_exception_fp_ieee_invalid_op 0
		.amdhsa_exception_fp_denorm_src 0
		.amdhsa_exception_fp_ieee_div_zero 0
		.amdhsa_exception_fp_ieee_overflow 0
		.amdhsa_exception_fp_ieee_underflow 0
		.amdhsa_exception_fp_ieee_inexact 0
		.amdhsa_exception_int_div_zero 0
	.end_amdhsa_kernel
	.section	.text._ZN9rocsparseL32kernel_count_diagonal_triangularIL20rocsparse_fill_mode_0ELj1024EiiEEvT2_PKT1_PKS2_21rocsparse_index_base_PS2_,"axG",@progbits,_ZN9rocsparseL32kernel_count_diagonal_triangularIL20rocsparse_fill_mode_0ELj1024EiiEEvT2_PKT1_PKS2_21rocsparse_index_base_PS2_,comdat
.Lfunc_end5:
	.size	_ZN9rocsparseL32kernel_count_diagonal_triangularIL20rocsparse_fill_mode_0ELj1024EiiEEvT2_PKT1_PKS2_21rocsparse_index_base_PS2_, .Lfunc_end5-_ZN9rocsparseL32kernel_count_diagonal_triangularIL20rocsparse_fill_mode_0ELj1024EiiEEvT2_PKT1_PKS2_21rocsparse_index_base_PS2_
                                        ; -- End function
	.set _ZN9rocsparseL32kernel_count_diagonal_triangularIL20rocsparse_fill_mode_0ELj1024EiiEEvT2_PKT1_PKS2_21rocsparse_index_base_PS2_.num_vgpr, 4
	.set _ZN9rocsparseL32kernel_count_diagonal_triangularIL20rocsparse_fill_mode_0ELj1024EiiEEvT2_PKT1_PKS2_21rocsparse_index_base_PS2_.num_agpr, 0
	.set _ZN9rocsparseL32kernel_count_diagonal_triangularIL20rocsparse_fill_mode_0ELj1024EiiEEvT2_PKT1_PKS2_21rocsparse_index_base_PS2_.numbered_sgpr, 7
	.set _ZN9rocsparseL32kernel_count_diagonal_triangularIL20rocsparse_fill_mode_0ELj1024EiiEEvT2_PKT1_PKS2_21rocsparse_index_base_PS2_.num_named_barrier, 0
	.set _ZN9rocsparseL32kernel_count_diagonal_triangularIL20rocsparse_fill_mode_0ELj1024EiiEEvT2_PKT1_PKS2_21rocsparse_index_base_PS2_.private_seg_size, 0
	.set _ZN9rocsparseL32kernel_count_diagonal_triangularIL20rocsparse_fill_mode_0ELj1024EiiEEvT2_PKT1_PKS2_21rocsparse_index_base_PS2_.uses_vcc, 1
	.set _ZN9rocsparseL32kernel_count_diagonal_triangularIL20rocsparse_fill_mode_0ELj1024EiiEEvT2_PKT1_PKS2_21rocsparse_index_base_PS2_.uses_flat_scratch, 0
	.set _ZN9rocsparseL32kernel_count_diagonal_triangularIL20rocsparse_fill_mode_0ELj1024EiiEEvT2_PKT1_PKS2_21rocsparse_index_base_PS2_.has_dyn_sized_stack, 0
	.set _ZN9rocsparseL32kernel_count_diagonal_triangularIL20rocsparse_fill_mode_0ELj1024EiiEEvT2_PKT1_PKS2_21rocsparse_index_base_PS2_.has_recursion, 0
	.set _ZN9rocsparseL32kernel_count_diagonal_triangularIL20rocsparse_fill_mode_0ELj1024EiiEEvT2_PKT1_PKS2_21rocsparse_index_base_PS2_.has_indirect_call, 0
	.section	.AMDGPU.csdata,"",@progbits
; Kernel info:
; codeLenInByte = 220
; TotalNumSgprs: 11
; NumVgprs: 4
; ScratchSize: 0
; MemoryBound: 0
; FloatMode: 240
; IeeeMode: 1
; LDSByteSize: 0 bytes/workgroup (compile time only)
; SGPRBlocks: 1
; VGPRBlocks: 0
; NumSGPRsForWavesPerEU: 11
; NumVGPRsForWavesPerEU: 4
; Occupancy: 10
; WaveLimiterHint : 1
; COMPUTE_PGM_RSRC2:SCRATCH_EN: 0
; COMPUTE_PGM_RSRC2:USER_SGPR: 6
; COMPUTE_PGM_RSRC2:TRAP_HANDLER: 0
; COMPUTE_PGM_RSRC2:TGID_X_EN: 1
; COMPUTE_PGM_RSRC2:TGID_Y_EN: 0
; COMPUTE_PGM_RSRC2:TGID_Z_EN: 0
; COMPUTE_PGM_RSRC2:TIDIG_COMP_CNT: 0
	.section	.text._ZN9rocsparseL32kernel_count_diagonal_triangularIL20rocsparse_fill_mode_1ELj1024EiiEEvT2_PKT1_PKS2_21rocsparse_index_base_PS2_,"axG",@progbits,_ZN9rocsparseL32kernel_count_diagonal_triangularIL20rocsparse_fill_mode_1ELj1024EiiEEvT2_PKT1_PKS2_21rocsparse_index_base_PS2_,comdat
	.globl	_ZN9rocsparseL32kernel_count_diagonal_triangularIL20rocsparse_fill_mode_1ELj1024EiiEEvT2_PKT1_PKS2_21rocsparse_index_base_PS2_ ; -- Begin function _ZN9rocsparseL32kernel_count_diagonal_triangularIL20rocsparse_fill_mode_1ELj1024EiiEEvT2_PKT1_PKS2_21rocsparse_index_base_PS2_
	.p2align	8
	.type	_ZN9rocsparseL32kernel_count_diagonal_triangularIL20rocsparse_fill_mode_1ELj1024EiiEEvT2_PKT1_PKS2_21rocsparse_index_base_PS2_,@function
_ZN9rocsparseL32kernel_count_diagonal_triangularIL20rocsparse_fill_mode_1ELj1024EiiEEvT2_PKT1_PKS2_21rocsparse_index_base_PS2_: ; @_ZN9rocsparseL32kernel_count_diagonal_triangularIL20rocsparse_fill_mode_1ELj1024EiiEEvT2_PKT1_PKS2_21rocsparse_index_base_PS2_
; %bb.0:
	s_load_dword s0, s[4:5], 0x0
	v_lshl_or_b32 v0, s6, 10, v0
	s_waitcnt lgkmcnt(0)
	v_cmp_gt_i32_e32 vcc, s0, v0
	s_and_saveexec_b64 s[0:1], vcc
	s_cbranch_execz .LBB6_4
; %bb.1:
	s_load_dwordx4 s[0:3], s[4:5], 0x8
	s_load_dword s6, s[4:5], 0x18
	v_ashrrev_i32_e32 v1, 31, v0
	v_lshlrev_b64 v[1:2], 2, v[0:1]
	s_waitcnt lgkmcnt(0)
	v_mov_b32_e32 v3, s1
	v_add_co_u32_e32 v1, vcc, s0, v1
	v_addc_co_u32_e32 v2, vcc, v3, v2, vcc
	global_load_dword v1, v[1:2], off
	v_mov_b32_e32 v3, s3
	s_waitcnt vmcnt(0)
	v_subrev_u32_e32 v1, s6, v1
	v_ashrrev_i32_e32 v2, 31, v1
	v_lshlrev_b64 v[1:2], 2, v[1:2]
	v_add_co_u32_e32 v1, vcc, s2, v1
	v_addc_co_u32_e32 v2, vcc, v3, v2, vcc
	global_load_dword v1, v[1:2], off
	s_waitcnt vmcnt(0)
	v_subrev_u32_e32 v1, s6, v1
	v_cmp_eq_u32_e32 vcc, v1, v0
	s_and_b64 exec, exec, vcc
	s_cbranch_execz .LBB6_4
; %bb.2:
	s_mov_b64 s[0:1], exec
	v_mbcnt_lo_u32_b32 v0, s0, 0
	v_mbcnt_hi_u32_b32 v0, s1, v0
	v_cmp_eq_u32_e32 vcc, 0, v0
	s_and_b64 s[2:3], exec, vcc
	s_mov_b64 exec, s[2:3]
	s_cbranch_execz .LBB6_4
; %bb.3:
	s_load_dwordx2 s[2:3], s[4:5], 0x20
	s_bcnt1_i32_b64 s0, s[0:1]
	v_mov_b32_e32 v0, 0
	v_mov_b32_e32 v1, s0
	s_waitcnt lgkmcnt(0)
	global_atomic_add v0, v1, s[2:3]
.LBB6_4:
	s_endpgm
	.section	.rodata,"a",@progbits
	.p2align	6, 0x0
	.amdhsa_kernel _ZN9rocsparseL32kernel_count_diagonal_triangularIL20rocsparse_fill_mode_1ELj1024EiiEEvT2_PKT1_PKS2_21rocsparse_index_base_PS2_
		.amdhsa_group_segment_fixed_size 0
		.amdhsa_private_segment_fixed_size 0
		.amdhsa_kernarg_size 40
		.amdhsa_user_sgpr_count 6
		.amdhsa_user_sgpr_private_segment_buffer 1
		.amdhsa_user_sgpr_dispatch_ptr 0
		.amdhsa_user_sgpr_queue_ptr 0
		.amdhsa_user_sgpr_kernarg_segment_ptr 1
		.amdhsa_user_sgpr_dispatch_id 0
		.amdhsa_user_sgpr_flat_scratch_init 0
		.amdhsa_user_sgpr_private_segment_size 0
		.amdhsa_uses_dynamic_stack 0
		.amdhsa_system_sgpr_private_segment_wavefront_offset 0
		.amdhsa_system_sgpr_workgroup_id_x 1
		.amdhsa_system_sgpr_workgroup_id_y 0
		.amdhsa_system_sgpr_workgroup_id_z 0
		.amdhsa_system_sgpr_workgroup_info 0
		.amdhsa_system_vgpr_workitem_id 0
		.amdhsa_next_free_vgpr 4
		.amdhsa_next_free_sgpr 7
		.amdhsa_reserve_vcc 1
		.amdhsa_reserve_flat_scratch 0
		.amdhsa_float_round_mode_32 0
		.amdhsa_float_round_mode_16_64 0
		.amdhsa_float_denorm_mode_32 3
		.amdhsa_float_denorm_mode_16_64 3
		.amdhsa_dx10_clamp 1
		.amdhsa_ieee_mode 1
		.amdhsa_fp16_overflow 0
		.amdhsa_exception_fp_ieee_invalid_op 0
		.amdhsa_exception_fp_denorm_src 0
		.amdhsa_exception_fp_ieee_div_zero 0
		.amdhsa_exception_fp_ieee_overflow 0
		.amdhsa_exception_fp_ieee_underflow 0
		.amdhsa_exception_fp_ieee_inexact 0
		.amdhsa_exception_int_div_zero 0
	.end_amdhsa_kernel
	.section	.text._ZN9rocsparseL32kernel_count_diagonal_triangularIL20rocsparse_fill_mode_1ELj1024EiiEEvT2_PKT1_PKS2_21rocsparse_index_base_PS2_,"axG",@progbits,_ZN9rocsparseL32kernel_count_diagonal_triangularIL20rocsparse_fill_mode_1ELj1024EiiEEvT2_PKT1_PKS2_21rocsparse_index_base_PS2_,comdat
.Lfunc_end6:
	.size	_ZN9rocsparseL32kernel_count_diagonal_triangularIL20rocsparse_fill_mode_1ELj1024EiiEEvT2_PKT1_PKS2_21rocsparse_index_base_PS2_, .Lfunc_end6-_ZN9rocsparseL32kernel_count_diagonal_triangularIL20rocsparse_fill_mode_1ELj1024EiiEEvT2_PKT1_PKS2_21rocsparse_index_base_PS2_
                                        ; -- End function
	.set _ZN9rocsparseL32kernel_count_diagonal_triangularIL20rocsparse_fill_mode_1ELj1024EiiEEvT2_PKT1_PKS2_21rocsparse_index_base_PS2_.num_vgpr, 4
	.set _ZN9rocsparseL32kernel_count_diagonal_triangularIL20rocsparse_fill_mode_1ELj1024EiiEEvT2_PKT1_PKS2_21rocsparse_index_base_PS2_.num_agpr, 0
	.set _ZN9rocsparseL32kernel_count_diagonal_triangularIL20rocsparse_fill_mode_1ELj1024EiiEEvT2_PKT1_PKS2_21rocsparse_index_base_PS2_.numbered_sgpr, 7
	.set _ZN9rocsparseL32kernel_count_diagonal_triangularIL20rocsparse_fill_mode_1ELj1024EiiEEvT2_PKT1_PKS2_21rocsparse_index_base_PS2_.num_named_barrier, 0
	.set _ZN9rocsparseL32kernel_count_diagonal_triangularIL20rocsparse_fill_mode_1ELj1024EiiEEvT2_PKT1_PKS2_21rocsparse_index_base_PS2_.private_seg_size, 0
	.set _ZN9rocsparseL32kernel_count_diagonal_triangularIL20rocsparse_fill_mode_1ELj1024EiiEEvT2_PKT1_PKS2_21rocsparse_index_base_PS2_.uses_vcc, 1
	.set _ZN9rocsparseL32kernel_count_diagonal_triangularIL20rocsparse_fill_mode_1ELj1024EiiEEvT2_PKT1_PKS2_21rocsparse_index_base_PS2_.uses_flat_scratch, 0
	.set _ZN9rocsparseL32kernel_count_diagonal_triangularIL20rocsparse_fill_mode_1ELj1024EiiEEvT2_PKT1_PKS2_21rocsparse_index_base_PS2_.has_dyn_sized_stack, 0
	.set _ZN9rocsparseL32kernel_count_diagonal_triangularIL20rocsparse_fill_mode_1ELj1024EiiEEvT2_PKT1_PKS2_21rocsparse_index_base_PS2_.has_recursion, 0
	.set _ZN9rocsparseL32kernel_count_diagonal_triangularIL20rocsparse_fill_mode_1ELj1024EiiEEvT2_PKT1_PKS2_21rocsparse_index_base_PS2_.has_indirect_call, 0
	.section	.AMDGPU.csdata,"",@progbits
; Kernel info:
; codeLenInByte = 216
; TotalNumSgprs: 11
; NumVgprs: 4
; ScratchSize: 0
; MemoryBound: 0
; FloatMode: 240
; IeeeMode: 1
; LDSByteSize: 0 bytes/workgroup (compile time only)
; SGPRBlocks: 1
; VGPRBlocks: 0
; NumSGPRsForWavesPerEU: 11
; NumVGPRsForWavesPerEU: 4
; Occupancy: 10
; WaveLimiterHint : 1
; COMPUTE_PGM_RSRC2:SCRATCH_EN: 0
; COMPUTE_PGM_RSRC2:USER_SGPR: 6
; COMPUTE_PGM_RSRC2:TRAP_HANDLER: 0
; COMPUTE_PGM_RSRC2:TGID_X_EN: 1
; COMPUTE_PGM_RSRC2:TGID_Y_EN: 0
; COMPUTE_PGM_RSRC2:TGID_Z_EN: 0
; COMPUTE_PGM_RSRC2:TIDIG_COMP_CNT: 0
	.section	.text._ZN9rocsparseL19kernel_ptr_end_unitILj1024EliEEvT1_PKT0_PKS1_PS2_21rocsparse_index_base_,"axG",@progbits,_ZN9rocsparseL19kernel_ptr_end_unitILj1024EliEEvT1_PKT0_PKS1_PS2_21rocsparse_index_base_,comdat
	.globl	_ZN9rocsparseL19kernel_ptr_end_unitILj1024EliEEvT1_PKT0_PKS1_PS2_21rocsparse_index_base_ ; -- Begin function _ZN9rocsparseL19kernel_ptr_end_unitILj1024EliEEvT1_PKT0_PKS1_PS2_21rocsparse_index_base_
	.p2align	8
	.type	_ZN9rocsparseL19kernel_ptr_end_unitILj1024EliEEvT1_PKT0_PKS1_PS2_21rocsparse_index_base_,@function
_ZN9rocsparseL19kernel_ptr_end_unitILj1024EliEEvT1_PKT0_PKS1_PS2_21rocsparse_index_base_: ; @_ZN9rocsparseL19kernel_ptr_end_unitILj1024EliEEvT1_PKT0_PKS1_PS2_21rocsparse_index_base_
; %bb.0:
	s_load_dword s0, s[4:5], 0x0
	v_lshl_or_b32 v4, s6, 10, v0
	s_waitcnt lgkmcnt(0)
	v_cmp_gt_i32_e32 vcc, s0, v4
	s_and_saveexec_b64 s[0:1], vcc
	s_cbranch_execz .LBB7_8
; %bb.1:
	s_load_dwordx2 s[0:1], s[4:5], 0x8
	s_load_dwordx2 s[2:3], s[4:5], 0x18
	v_ashrrev_i32_e32 v5, 31, v4
	v_lshlrev_b64 v[5:6], 3, v[4:5]
	s_waitcnt lgkmcnt(0)
	v_mov_b32_e32 v1, s1
	v_add_co_u32_e32 v0, vcc, s0, v5
	v_addc_co_u32_e32 v1, vcc, v1, v6, vcc
	global_load_dwordx4 v[0:3], v[0:1], off
	v_mov_b32_e32 v7, s3
	v_add_co_u32_e32 v5, vcc, s2, v5
	v_addc_co_u32_e32 v6, vcc, v7, v6, vcc
	s_waitcnt vmcnt(0)
	v_cmp_lt_i64_e32 vcc, v[0:1], v[2:3]
	global_store_dwordx2 v[5:6], v[2:3], off
	s_and_b64 exec, exec, vcc
	s_cbranch_execz .LBB7_8
; %bb.2:
	s_load_dword s0, s[4:5], 0x20
	s_load_dwordx2 s[2:3], s[4:5], 0x10
	s_mov_b32 s1, 0
                                        ; implicit-def: $sgpr8_sgpr9
                                        ; implicit-def: $sgpr6_sgpr7
	s_waitcnt lgkmcnt(0)
	v_subrev_co_u32_e32 v2, vcc, s0, v2
	v_subbrev_co_u32_e32 v3, vcc, 0, v3, vcc
	v_subrev_co_u32_e32 v7, vcc, s0, v0
	v_subbrev_co_u32_e32 v8, vcc, 0, v1, vcc
	v_lshlrev_b64 v[0:1], 2, v[0:1]
	s_lshl_b64 s[4:5], s[0:1], 2
	v_mov_b32_e32 v9, s5
	v_subrev_co_u32_e32 v0, vcc, s4, v0
	v_subb_co_u32_e32 v1, vcc, v1, v9, vcc
	v_mov_b32_e32 v9, s3
	v_add_co_u32_e32 v0, vcc, s2, v0
	v_addc_co_u32_e32 v1, vcc, v9, v1, vcc
	s_mov_b64 s[2:3], 0
                                        ; implicit-def: $sgpr4_sgpr5
	s_branch .LBB7_4
.LBB7_3:                                ;   in Loop: Header=BB7_4 Depth=1
	s_or_b64 exec, exec, s[10:11]
	s_and_b64 s[10:11], exec, s[8:9]
	s_or_b64 s[2:3], s[10:11], s[2:3]
	s_andn2_b64 s[4:5], s[4:5], exec
	s_and_b64 s[10:11], s[6:7], exec
	s_or_b64 s[4:5], s[4:5], s[10:11]
	s_andn2_b64 exec, exec, s[2:3]
	s_cbranch_execz .LBB7_6
.LBB7_4:                                ; =>This Inner Loop Header: Depth=1
	global_load_dword v11, v[0:1], off
	v_mov_b32_e32 v10, v8
	v_mov_b32_e32 v9, v7
	s_or_b64 s[6:7], s[6:7], exec
	s_or_b64 s[8:9], s[8:9], exec
	s_waitcnt vmcnt(0)
	v_subrev_u32_e32 v7, s0, v11
	v_cmp_lt_i32_e32 vcc, v7, v4
                                        ; implicit-def: $vgpr7_vgpr8
	s_and_saveexec_b64 s[10:11], vcc
	s_cbranch_execz .LBB7_3
; %bb.5:                                ;   in Loop: Header=BB7_4 Depth=1
	v_add_co_u32_e32 v7, vcc, 1, v9
	v_addc_co_u32_e32 v8, vcc, 0, v10, vcc
	v_add_co_u32_e32 v0, vcc, 4, v0
	v_addc_co_u32_e32 v1, vcc, 0, v1, vcc
	v_cmp_ge_i64_e32 vcc, v[7:8], v[2:3]
	s_andn2_b64 s[8:9], s[8:9], exec
	s_and_b64 s[12:13], vcc, exec
	s_andn2_b64 s[6:7], s[6:7], exec
	s_or_b64 s[8:9], s[8:9], s[12:13]
	s_branch .LBB7_3
.LBB7_6:
	s_or_b64 exec, exec, s[2:3]
	s_and_saveexec_b64 s[2:3], s[4:5]
	s_xor_b64 s[2:3], exec, s[2:3]
	s_cbranch_execz .LBB7_8
; %bb.7:
	v_add_co_u32_e32 v0, vcc, s0, v9
	v_addc_co_u32_e32 v1, vcc, 0, v10, vcc
	global_store_dwordx2 v[5:6], v[0:1], off
.LBB7_8:
	s_endpgm
	.section	.rodata,"a",@progbits
	.p2align	6, 0x0
	.amdhsa_kernel _ZN9rocsparseL19kernel_ptr_end_unitILj1024EliEEvT1_PKT0_PKS1_PS2_21rocsparse_index_base_
		.amdhsa_group_segment_fixed_size 0
		.amdhsa_private_segment_fixed_size 0
		.amdhsa_kernarg_size 36
		.amdhsa_user_sgpr_count 6
		.amdhsa_user_sgpr_private_segment_buffer 1
		.amdhsa_user_sgpr_dispatch_ptr 0
		.amdhsa_user_sgpr_queue_ptr 0
		.amdhsa_user_sgpr_kernarg_segment_ptr 1
		.amdhsa_user_sgpr_dispatch_id 0
		.amdhsa_user_sgpr_flat_scratch_init 0
		.amdhsa_user_sgpr_private_segment_size 0
		.amdhsa_uses_dynamic_stack 0
		.amdhsa_system_sgpr_private_segment_wavefront_offset 0
		.amdhsa_system_sgpr_workgroup_id_x 1
		.amdhsa_system_sgpr_workgroup_id_y 0
		.amdhsa_system_sgpr_workgroup_id_z 0
		.amdhsa_system_sgpr_workgroup_info 0
		.amdhsa_system_vgpr_workitem_id 0
		.amdhsa_next_free_vgpr 12
		.amdhsa_next_free_sgpr 14
		.amdhsa_reserve_vcc 1
		.amdhsa_reserve_flat_scratch 0
		.amdhsa_float_round_mode_32 0
		.amdhsa_float_round_mode_16_64 0
		.amdhsa_float_denorm_mode_32 3
		.amdhsa_float_denorm_mode_16_64 3
		.amdhsa_dx10_clamp 1
		.amdhsa_ieee_mode 1
		.amdhsa_fp16_overflow 0
		.amdhsa_exception_fp_ieee_invalid_op 0
		.amdhsa_exception_fp_denorm_src 0
		.amdhsa_exception_fp_ieee_div_zero 0
		.amdhsa_exception_fp_ieee_overflow 0
		.amdhsa_exception_fp_ieee_underflow 0
		.amdhsa_exception_fp_ieee_inexact 0
		.amdhsa_exception_int_div_zero 0
	.end_amdhsa_kernel
	.section	.text._ZN9rocsparseL19kernel_ptr_end_unitILj1024EliEEvT1_PKT0_PKS1_PS2_21rocsparse_index_base_,"axG",@progbits,_ZN9rocsparseL19kernel_ptr_end_unitILj1024EliEEvT1_PKT0_PKS1_PS2_21rocsparse_index_base_,comdat
.Lfunc_end7:
	.size	_ZN9rocsparseL19kernel_ptr_end_unitILj1024EliEEvT1_PKT0_PKS1_PS2_21rocsparse_index_base_, .Lfunc_end7-_ZN9rocsparseL19kernel_ptr_end_unitILj1024EliEEvT1_PKT0_PKS1_PS2_21rocsparse_index_base_
                                        ; -- End function
	.set _ZN9rocsparseL19kernel_ptr_end_unitILj1024EliEEvT1_PKT0_PKS1_PS2_21rocsparse_index_base_.num_vgpr, 12
	.set _ZN9rocsparseL19kernel_ptr_end_unitILj1024EliEEvT1_PKT0_PKS1_PS2_21rocsparse_index_base_.num_agpr, 0
	.set _ZN9rocsparseL19kernel_ptr_end_unitILj1024EliEEvT1_PKT0_PKS1_PS2_21rocsparse_index_base_.numbered_sgpr, 14
	.set _ZN9rocsparseL19kernel_ptr_end_unitILj1024EliEEvT1_PKT0_PKS1_PS2_21rocsparse_index_base_.num_named_barrier, 0
	.set _ZN9rocsparseL19kernel_ptr_end_unitILj1024EliEEvT1_PKT0_PKS1_PS2_21rocsparse_index_base_.private_seg_size, 0
	.set _ZN9rocsparseL19kernel_ptr_end_unitILj1024EliEEvT1_PKT0_PKS1_PS2_21rocsparse_index_base_.uses_vcc, 1
	.set _ZN9rocsparseL19kernel_ptr_end_unitILj1024EliEEvT1_PKT0_PKS1_PS2_21rocsparse_index_base_.uses_flat_scratch, 0
	.set _ZN9rocsparseL19kernel_ptr_end_unitILj1024EliEEvT1_PKT0_PKS1_PS2_21rocsparse_index_base_.has_dyn_sized_stack, 0
	.set _ZN9rocsparseL19kernel_ptr_end_unitILj1024EliEEvT1_PKT0_PKS1_PS2_21rocsparse_index_base_.has_recursion, 0
	.set _ZN9rocsparseL19kernel_ptr_end_unitILj1024EliEEvT1_PKT0_PKS1_PS2_21rocsparse_index_base_.has_indirect_call, 0
	.section	.AMDGPU.csdata,"",@progbits
; Kernel info:
; codeLenInByte = 356
; TotalNumSgprs: 18
; NumVgprs: 12
; ScratchSize: 0
; MemoryBound: 0
; FloatMode: 240
; IeeeMode: 1
; LDSByteSize: 0 bytes/workgroup (compile time only)
; SGPRBlocks: 2
; VGPRBlocks: 2
; NumSGPRsForWavesPerEU: 18
; NumVGPRsForWavesPerEU: 12
; Occupancy: 10
; WaveLimiterHint : 0
; COMPUTE_PGM_RSRC2:SCRATCH_EN: 0
; COMPUTE_PGM_RSRC2:USER_SGPR: 6
; COMPUTE_PGM_RSRC2:TRAP_HANDLER: 0
; COMPUTE_PGM_RSRC2:TGID_X_EN: 1
; COMPUTE_PGM_RSRC2:TGID_Y_EN: 0
; COMPUTE_PGM_RSRC2:TGID_Z_EN: 0
; COMPUTE_PGM_RSRC2:TIDIG_COMP_CNT: 0
	.section	.text._ZN9rocsparseL23kernel_ptr_end_non_unitILj1024EliEEvT1_PKT0_PKS1_PS2_21rocsparse_index_base_,"axG",@progbits,_ZN9rocsparseL23kernel_ptr_end_non_unitILj1024EliEEvT1_PKT0_PKS1_PS2_21rocsparse_index_base_,comdat
	.globl	_ZN9rocsparseL23kernel_ptr_end_non_unitILj1024EliEEvT1_PKT0_PKS1_PS2_21rocsparse_index_base_ ; -- Begin function _ZN9rocsparseL23kernel_ptr_end_non_unitILj1024EliEEvT1_PKT0_PKS1_PS2_21rocsparse_index_base_
	.p2align	8
	.type	_ZN9rocsparseL23kernel_ptr_end_non_unitILj1024EliEEvT1_PKT0_PKS1_PS2_21rocsparse_index_base_,@function
_ZN9rocsparseL23kernel_ptr_end_non_unitILj1024EliEEvT1_PKT0_PKS1_PS2_21rocsparse_index_base_: ; @_ZN9rocsparseL23kernel_ptr_end_non_unitILj1024EliEEvT1_PKT0_PKS1_PS2_21rocsparse_index_base_
; %bb.0:
	s_load_dword s0, s[4:5], 0x0
	v_lshl_or_b32 v4, s6, 10, v0
	s_waitcnt lgkmcnt(0)
	v_cmp_gt_u32_e32 vcc, s0, v4
	s_and_saveexec_b64 s[0:1], vcc
	s_cbranch_execz .LBB8_8
; %bb.1:
	s_load_dwordx2 s[0:1], s[4:5], 0x8
	s_load_dwordx2 s[2:3], s[4:5], 0x18
	v_mov_b32_e32 v5, 0
	v_lshlrev_b64 v[5:6], 3, v[4:5]
	s_waitcnt lgkmcnt(0)
	v_mov_b32_e32 v1, s1
	v_add_co_u32_e32 v0, vcc, s0, v5
	v_addc_co_u32_e32 v1, vcc, v1, v6, vcc
	global_load_dwordx4 v[0:3], v[0:1], off
	v_mov_b32_e32 v7, s3
	v_add_co_u32_e32 v5, vcc, s2, v5
	v_addc_co_u32_e32 v6, vcc, v7, v6, vcc
	s_waitcnt vmcnt(0)
	v_cmp_lt_i64_e32 vcc, v[0:1], v[2:3]
	global_store_dwordx2 v[5:6], v[2:3], off
	s_and_b64 exec, exec, vcc
	s_cbranch_execz .LBB8_8
; %bb.2:
	s_load_dword s0, s[4:5], 0x20
	s_load_dwordx2 s[2:3], s[4:5], 0x10
	s_mov_b32 s1, 0
                                        ; implicit-def: $sgpr8_sgpr9
                                        ; implicit-def: $sgpr6_sgpr7
	s_waitcnt lgkmcnt(0)
	v_subrev_co_u32_e32 v2, vcc, s0, v2
	v_subbrev_co_u32_e32 v3, vcc, 0, v3, vcc
	v_subrev_co_u32_e32 v7, vcc, s0, v0
	v_subbrev_co_u32_e32 v8, vcc, 0, v1, vcc
	v_lshlrev_b64 v[0:1], 2, v[0:1]
	s_lshl_b64 s[4:5], s[0:1], 2
	v_mov_b32_e32 v9, s5
	v_subrev_co_u32_e32 v0, vcc, s4, v0
	v_subb_co_u32_e32 v1, vcc, v1, v9, vcc
	v_mov_b32_e32 v9, s3
	v_add_co_u32_e32 v0, vcc, s2, v0
	v_addc_co_u32_e32 v1, vcc, v9, v1, vcc
	s_mov_b64 s[2:3], 0
                                        ; implicit-def: $sgpr4_sgpr5
	s_branch .LBB8_4
.LBB8_3:                                ;   in Loop: Header=BB8_4 Depth=1
	s_or_b64 exec, exec, s[10:11]
	s_and_b64 s[10:11], exec, s[8:9]
	s_or_b64 s[2:3], s[10:11], s[2:3]
	s_andn2_b64 s[4:5], s[4:5], exec
	s_and_b64 s[10:11], s[6:7], exec
	s_or_b64 s[4:5], s[4:5], s[10:11]
	s_andn2_b64 exec, exec, s[2:3]
	s_cbranch_execz .LBB8_6
.LBB8_4:                                ; =>This Inner Loop Header: Depth=1
	global_load_dword v11, v[0:1], off
	v_mov_b32_e32 v10, v8
	v_mov_b32_e32 v9, v7
	s_or_b64 s[6:7], s[6:7], exec
	s_or_b64 s[8:9], s[8:9], exec
	s_waitcnt vmcnt(0)
	v_subrev_u32_e32 v7, s0, v11
	v_cmp_le_u32_e32 vcc, v7, v4
                                        ; implicit-def: $vgpr7_vgpr8
	s_and_saveexec_b64 s[10:11], vcc
	s_cbranch_execz .LBB8_3
; %bb.5:                                ;   in Loop: Header=BB8_4 Depth=1
	v_add_co_u32_e32 v7, vcc, 1, v9
	v_addc_co_u32_e32 v8, vcc, 0, v10, vcc
	v_add_co_u32_e32 v0, vcc, 4, v0
	v_addc_co_u32_e32 v1, vcc, 0, v1, vcc
	v_cmp_ge_i64_e32 vcc, v[7:8], v[2:3]
	s_andn2_b64 s[8:9], s[8:9], exec
	s_and_b64 s[12:13], vcc, exec
	s_andn2_b64 s[6:7], s[6:7], exec
	s_or_b64 s[8:9], s[8:9], s[12:13]
	s_branch .LBB8_3
.LBB8_6:
	s_or_b64 exec, exec, s[2:3]
	s_and_saveexec_b64 s[2:3], s[4:5]
	s_xor_b64 s[2:3], exec, s[2:3]
	s_cbranch_execz .LBB8_8
; %bb.7:
	v_add_co_u32_e32 v0, vcc, s0, v9
	v_addc_co_u32_e32 v1, vcc, 0, v10, vcc
	global_store_dwordx2 v[5:6], v[0:1], off
.LBB8_8:
	s_endpgm
	.section	.rodata,"a",@progbits
	.p2align	6, 0x0
	.amdhsa_kernel _ZN9rocsparseL23kernel_ptr_end_non_unitILj1024EliEEvT1_PKT0_PKS1_PS2_21rocsparse_index_base_
		.amdhsa_group_segment_fixed_size 0
		.amdhsa_private_segment_fixed_size 0
		.amdhsa_kernarg_size 36
		.amdhsa_user_sgpr_count 6
		.amdhsa_user_sgpr_private_segment_buffer 1
		.amdhsa_user_sgpr_dispatch_ptr 0
		.amdhsa_user_sgpr_queue_ptr 0
		.amdhsa_user_sgpr_kernarg_segment_ptr 1
		.amdhsa_user_sgpr_dispatch_id 0
		.amdhsa_user_sgpr_flat_scratch_init 0
		.amdhsa_user_sgpr_private_segment_size 0
		.amdhsa_uses_dynamic_stack 0
		.amdhsa_system_sgpr_private_segment_wavefront_offset 0
		.amdhsa_system_sgpr_workgroup_id_x 1
		.amdhsa_system_sgpr_workgroup_id_y 0
		.amdhsa_system_sgpr_workgroup_id_z 0
		.amdhsa_system_sgpr_workgroup_info 0
		.amdhsa_system_vgpr_workitem_id 0
		.amdhsa_next_free_vgpr 12
		.amdhsa_next_free_sgpr 14
		.amdhsa_reserve_vcc 1
		.amdhsa_reserve_flat_scratch 0
		.amdhsa_float_round_mode_32 0
		.amdhsa_float_round_mode_16_64 0
		.amdhsa_float_denorm_mode_32 3
		.amdhsa_float_denorm_mode_16_64 3
		.amdhsa_dx10_clamp 1
		.amdhsa_ieee_mode 1
		.amdhsa_fp16_overflow 0
		.amdhsa_exception_fp_ieee_invalid_op 0
		.amdhsa_exception_fp_denorm_src 0
		.amdhsa_exception_fp_ieee_div_zero 0
		.amdhsa_exception_fp_ieee_overflow 0
		.amdhsa_exception_fp_ieee_underflow 0
		.amdhsa_exception_fp_ieee_inexact 0
		.amdhsa_exception_int_div_zero 0
	.end_amdhsa_kernel
	.section	.text._ZN9rocsparseL23kernel_ptr_end_non_unitILj1024EliEEvT1_PKT0_PKS1_PS2_21rocsparse_index_base_,"axG",@progbits,_ZN9rocsparseL23kernel_ptr_end_non_unitILj1024EliEEvT1_PKT0_PKS1_PS2_21rocsparse_index_base_,comdat
.Lfunc_end8:
	.size	_ZN9rocsparseL23kernel_ptr_end_non_unitILj1024EliEEvT1_PKT0_PKS1_PS2_21rocsparse_index_base_, .Lfunc_end8-_ZN9rocsparseL23kernel_ptr_end_non_unitILj1024EliEEvT1_PKT0_PKS1_PS2_21rocsparse_index_base_
                                        ; -- End function
	.set _ZN9rocsparseL23kernel_ptr_end_non_unitILj1024EliEEvT1_PKT0_PKS1_PS2_21rocsparse_index_base_.num_vgpr, 12
	.set _ZN9rocsparseL23kernel_ptr_end_non_unitILj1024EliEEvT1_PKT0_PKS1_PS2_21rocsparse_index_base_.num_agpr, 0
	.set _ZN9rocsparseL23kernel_ptr_end_non_unitILj1024EliEEvT1_PKT0_PKS1_PS2_21rocsparse_index_base_.numbered_sgpr, 14
	.set _ZN9rocsparseL23kernel_ptr_end_non_unitILj1024EliEEvT1_PKT0_PKS1_PS2_21rocsparse_index_base_.num_named_barrier, 0
	.set _ZN9rocsparseL23kernel_ptr_end_non_unitILj1024EliEEvT1_PKT0_PKS1_PS2_21rocsparse_index_base_.private_seg_size, 0
	.set _ZN9rocsparseL23kernel_ptr_end_non_unitILj1024EliEEvT1_PKT0_PKS1_PS2_21rocsparse_index_base_.uses_vcc, 1
	.set _ZN9rocsparseL23kernel_ptr_end_non_unitILj1024EliEEvT1_PKT0_PKS1_PS2_21rocsparse_index_base_.uses_flat_scratch, 0
	.set _ZN9rocsparseL23kernel_ptr_end_non_unitILj1024EliEEvT1_PKT0_PKS1_PS2_21rocsparse_index_base_.has_dyn_sized_stack, 0
	.set _ZN9rocsparseL23kernel_ptr_end_non_unitILj1024EliEEvT1_PKT0_PKS1_PS2_21rocsparse_index_base_.has_recursion, 0
	.set _ZN9rocsparseL23kernel_ptr_end_non_unitILj1024EliEEvT1_PKT0_PKS1_PS2_21rocsparse_index_base_.has_indirect_call, 0
	.section	.AMDGPU.csdata,"",@progbits
; Kernel info:
; codeLenInByte = 356
; TotalNumSgprs: 18
; NumVgprs: 12
; ScratchSize: 0
; MemoryBound: 0
; FloatMode: 240
; IeeeMode: 1
; LDSByteSize: 0 bytes/workgroup (compile time only)
; SGPRBlocks: 2
; VGPRBlocks: 2
; NumSGPRsForWavesPerEU: 18
; NumVGPRsForWavesPerEU: 12
; Occupancy: 10
; WaveLimiterHint : 0
; COMPUTE_PGM_RSRC2:SCRATCH_EN: 0
; COMPUTE_PGM_RSRC2:USER_SGPR: 6
; COMPUTE_PGM_RSRC2:TRAP_HANDLER: 0
; COMPUTE_PGM_RSRC2:TGID_X_EN: 1
; COMPUTE_PGM_RSRC2:TGID_Y_EN: 0
; COMPUTE_PGM_RSRC2:TGID_Z_EN: 0
; COMPUTE_PGM_RSRC2:TIDIG_COMP_CNT: 0
	.section	.text._ZN9rocsparseL29kernel_count_missing_diagonalILj1024EliEEvT1_PKT0_S1_PKS1_21rocsparse_index_base_PS1_Pi,"axG",@progbits,_ZN9rocsparseL29kernel_count_missing_diagonalILj1024EliEEvT1_PKT0_S1_PKS1_21rocsparse_index_base_PS1_Pi,comdat
	.globl	_ZN9rocsparseL29kernel_count_missing_diagonalILj1024EliEEvT1_PKT0_S1_PKS1_21rocsparse_index_base_PS1_Pi ; -- Begin function _ZN9rocsparseL29kernel_count_missing_diagonalILj1024EliEEvT1_PKT0_S1_PKS1_21rocsparse_index_base_PS1_Pi
	.p2align	8
	.type	_ZN9rocsparseL29kernel_count_missing_diagonalILj1024EliEEvT1_PKT0_S1_PKS1_21rocsparse_index_base_PS1_Pi,@function
_ZN9rocsparseL29kernel_count_missing_diagonalILj1024EliEEvT1_PKT0_S1_PKS1_21rocsparse_index_base_PS1_Pi: ; @_ZN9rocsparseL29kernel_count_missing_diagonalILj1024EliEEvT1_PKT0_S1_PKS1_21rocsparse_index_base_PS1_Pi
; %bb.0:
	s_load_dword s0, s[4:5], 0x0
	v_lshl_or_b32 v0, s6, 10, v0
	s_waitcnt lgkmcnt(0)
	v_cmp_gt_i32_e32 vcc, s0, v0
	s_and_saveexec_b64 s[0:1], vcc
	s_cbranch_execz .LBB9_8
; %bb.1:
	s_load_dwordx2 s[0:1], s[4:5], 0x8
	s_load_dword s8, s[4:5], 0x20
	s_load_dword s2, s[4:5], 0x10
	v_ashrrev_i32_e32 v1, 31, v0
	v_lshlrev_b64 v[1:2], 3, v[0:1]
	s_waitcnt lgkmcnt(0)
	v_mov_b32_e32 v3, s1
	v_add_co_u32_e32 v1, vcc, s0, v1
	v_addc_co_u32_e32 v2, vcc, v3, v2, vcc
	global_load_dwordx2 v[1:2], v[1:2], off
	s_load_dwordx2 s[0:1], s[4:5], 0x18
	s_ashr_i32 s3, s2, 31
	s_lshl_b64 s[2:3], s[2:3], 2
	v_mov_b32_e32 v4, s3
	s_waitcnt lgkmcnt(0)
	v_mov_b32_e32 v3, s1
	s_waitcnt vmcnt(0)
	v_subrev_co_u32_e32 v1, vcc, s8, v1
	v_subbrev_co_u32_e32 v2, vcc, 0, v2, vcc
	v_lshlrev_b64 v[1:2], 2, v[1:2]
	v_add_co_u32_e32 v1, vcc, s0, v1
	v_addc_co_u32_e32 v2, vcc, v3, v2, vcc
	v_add_co_u32_e32 v1, vcc, s2, v1
	v_addc_co_u32_e32 v2, vcc, v2, v4, vcc
	global_load_dword v1, v[1:2], off
	s_waitcnt vmcnt(0)
	v_subrev_u32_e32 v1, s8, v1
	v_cmp_ne_u32_e32 vcc, v1, v0
	s_and_b64 exec, exec, vcc
	s_cbranch_execz .LBB9_8
; %bb.2:
	s_load_dwordx4 s[0:3], s[4:5], 0x28
	s_mov_b64 s[6:7], exec
	v_add_u32_e32 v0, s8, v0
	s_brev_b32 s8, -2
.LBB9_3:                                ; =>This Inner Loop Header: Depth=1
	s_ff1_i32_b64 s4, s[6:7]
	v_readlane_b32 s9, v0, s4
	s_lshl_b64 s[4:5], 1, s4
	s_min_i32 s8, s8, s9
	s_andn2_b64 s[6:7], s[6:7], s[4:5]
	s_cmp_lg_u64 s[6:7], 0
	s_cbranch_scc1 .LBB9_3
; %bb.4:
	v_mbcnt_lo_u32_b32 v0, exec_lo, 0
	v_mbcnt_hi_u32_b32 v0, exec_hi, v0
	v_cmp_eq_u32_e32 vcc, 0, v0
	s_and_saveexec_b64 s[4:5], vcc
	s_xor_b64 s[4:5], exec, s[4:5]
	s_cbranch_execz .LBB9_6
; %bb.5:
	v_mov_b32_e32 v0, 0
	v_mov_b32_e32 v1, s8
	s_waitcnt lgkmcnt(0)
	global_atomic_smin v0, v1, s[2:3]
.LBB9_6:
	s_or_b64 exec, exec, s[4:5]
	s_waitcnt lgkmcnt(0)
	s_mov_b64 s[2:3], exec
	v_mbcnt_lo_u32_b32 v0, s2, 0
	v_mbcnt_hi_u32_b32 v0, s3, v0
	v_cmp_eq_u32_e32 vcc, 0, v0
	s_and_b64 s[4:5], exec, vcc
	s_mov_b64 exec, s[4:5]
	s_cbranch_execz .LBB9_8
; %bb.7:
	s_bcnt1_i32_b64 s2, s[2:3]
	v_mov_b32_e32 v0, 0
	v_mov_b32_e32 v1, s2
	global_atomic_add v0, v1, s[0:1]
.LBB9_8:
	s_endpgm
	.section	.rodata,"a",@progbits
	.p2align	6, 0x0
	.amdhsa_kernel _ZN9rocsparseL29kernel_count_missing_diagonalILj1024EliEEvT1_PKT0_S1_PKS1_21rocsparse_index_base_PS1_Pi
		.amdhsa_group_segment_fixed_size 0
		.amdhsa_private_segment_fixed_size 0
		.amdhsa_kernarg_size 56
		.amdhsa_user_sgpr_count 6
		.amdhsa_user_sgpr_private_segment_buffer 1
		.amdhsa_user_sgpr_dispatch_ptr 0
		.amdhsa_user_sgpr_queue_ptr 0
		.amdhsa_user_sgpr_kernarg_segment_ptr 1
		.amdhsa_user_sgpr_dispatch_id 0
		.amdhsa_user_sgpr_flat_scratch_init 0
		.amdhsa_user_sgpr_private_segment_size 0
		.amdhsa_uses_dynamic_stack 0
		.amdhsa_system_sgpr_private_segment_wavefront_offset 0
		.amdhsa_system_sgpr_workgroup_id_x 1
		.amdhsa_system_sgpr_workgroup_id_y 0
		.amdhsa_system_sgpr_workgroup_id_z 0
		.amdhsa_system_sgpr_workgroup_info 0
		.amdhsa_system_vgpr_workitem_id 0
		.amdhsa_next_free_vgpr 5
		.amdhsa_next_free_sgpr 10
		.amdhsa_reserve_vcc 1
		.amdhsa_reserve_flat_scratch 0
		.amdhsa_float_round_mode_32 0
		.amdhsa_float_round_mode_16_64 0
		.amdhsa_float_denorm_mode_32 3
		.amdhsa_float_denorm_mode_16_64 3
		.amdhsa_dx10_clamp 1
		.amdhsa_ieee_mode 1
		.amdhsa_fp16_overflow 0
		.amdhsa_exception_fp_ieee_invalid_op 0
		.amdhsa_exception_fp_denorm_src 0
		.amdhsa_exception_fp_ieee_div_zero 0
		.amdhsa_exception_fp_ieee_overflow 0
		.amdhsa_exception_fp_ieee_underflow 0
		.amdhsa_exception_fp_ieee_inexact 0
		.amdhsa_exception_int_div_zero 0
	.end_amdhsa_kernel
	.section	.text._ZN9rocsparseL29kernel_count_missing_diagonalILj1024EliEEvT1_PKT0_S1_PKS1_21rocsparse_index_base_PS1_Pi,"axG",@progbits,_ZN9rocsparseL29kernel_count_missing_diagonalILj1024EliEEvT1_PKT0_S1_PKS1_21rocsparse_index_base_PS1_Pi,comdat
.Lfunc_end9:
	.size	_ZN9rocsparseL29kernel_count_missing_diagonalILj1024EliEEvT1_PKT0_S1_PKS1_21rocsparse_index_base_PS1_Pi, .Lfunc_end9-_ZN9rocsparseL29kernel_count_missing_diagonalILj1024EliEEvT1_PKT0_S1_PKS1_21rocsparse_index_base_PS1_Pi
                                        ; -- End function
	.set _ZN9rocsparseL29kernel_count_missing_diagonalILj1024EliEEvT1_PKT0_S1_PKS1_21rocsparse_index_base_PS1_Pi.num_vgpr, 5
	.set _ZN9rocsparseL29kernel_count_missing_diagonalILj1024EliEEvT1_PKT0_S1_PKS1_21rocsparse_index_base_PS1_Pi.num_agpr, 0
	.set _ZN9rocsparseL29kernel_count_missing_diagonalILj1024EliEEvT1_PKT0_S1_PKS1_21rocsparse_index_base_PS1_Pi.numbered_sgpr, 10
	.set _ZN9rocsparseL29kernel_count_missing_diagonalILj1024EliEEvT1_PKT0_S1_PKS1_21rocsparse_index_base_PS1_Pi.num_named_barrier, 0
	.set _ZN9rocsparseL29kernel_count_missing_diagonalILj1024EliEEvT1_PKT0_S1_PKS1_21rocsparse_index_base_PS1_Pi.private_seg_size, 0
	.set _ZN9rocsparseL29kernel_count_missing_diagonalILj1024EliEEvT1_PKT0_S1_PKS1_21rocsparse_index_base_PS1_Pi.uses_vcc, 1
	.set _ZN9rocsparseL29kernel_count_missing_diagonalILj1024EliEEvT1_PKT0_S1_PKS1_21rocsparse_index_base_PS1_Pi.uses_flat_scratch, 0
	.set _ZN9rocsparseL29kernel_count_missing_diagonalILj1024EliEEvT1_PKT0_S1_PKS1_21rocsparse_index_base_PS1_Pi.has_dyn_sized_stack, 0
	.set _ZN9rocsparseL29kernel_count_missing_diagonalILj1024EliEEvT1_PKT0_S1_PKS1_21rocsparse_index_base_PS1_Pi.has_recursion, 0
	.set _ZN9rocsparseL29kernel_count_missing_diagonalILj1024EliEEvT1_PKT0_S1_PKS1_21rocsparse_index_base_PS1_Pi.has_indirect_call, 0
	.section	.AMDGPU.csdata,"",@progbits
; Kernel info:
; codeLenInByte = 356
; TotalNumSgprs: 14
; NumVgprs: 5
; ScratchSize: 0
; MemoryBound: 0
; FloatMode: 240
; IeeeMode: 1
; LDSByteSize: 0 bytes/workgroup (compile time only)
; SGPRBlocks: 1
; VGPRBlocks: 1
; NumSGPRsForWavesPerEU: 14
; NumVGPRsForWavesPerEU: 5
; Occupancy: 10
; WaveLimiterHint : 1
; COMPUTE_PGM_RSRC2:SCRATCH_EN: 0
; COMPUTE_PGM_RSRC2:USER_SGPR: 6
; COMPUTE_PGM_RSRC2:TRAP_HANDLER: 0
; COMPUTE_PGM_RSRC2:TGID_X_EN: 1
; COMPUTE_PGM_RSRC2:TGID_Y_EN: 0
; COMPUTE_PGM_RSRC2:TGID_Z_EN: 0
; COMPUTE_PGM_RSRC2:TIDIG_COMP_CNT: 0
	.section	.text._ZN9rocsparseL30kernel_count_missing_diagonal2IL20rocsparse_fill_mode_0ELj1024EliEEvT2_PKT1_PKS2_21rocsparse_index_base_PS2_Pi,"axG",@progbits,_ZN9rocsparseL30kernel_count_missing_diagonal2IL20rocsparse_fill_mode_0ELj1024EliEEvT2_PKT1_PKS2_21rocsparse_index_base_PS2_Pi,comdat
	.globl	_ZN9rocsparseL30kernel_count_missing_diagonal2IL20rocsparse_fill_mode_0ELj1024EliEEvT2_PKT1_PKS2_21rocsparse_index_base_PS2_Pi ; -- Begin function _ZN9rocsparseL30kernel_count_missing_diagonal2IL20rocsparse_fill_mode_0ELj1024EliEEvT2_PKT1_PKS2_21rocsparse_index_base_PS2_Pi
	.p2align	8
	.type	_ZN9rocsparseL30kernel_count_missing_diagonal2IL20rocsparse_fill_mode_0ELj1024EliEEvT2_PKT1_PKS2_21rocsparse_index_base_PS2_Pi,@function
_ZN9rocsparseL30kernel_count_missing_diagonal2IL20rocsparse_fill_mode_0ELj1024EliEEvT2_PKT1_PKS2_21rocsparse_index_base_PS2_Pi: ; @_ZN9rocsparseL30kernel_count_missing_diagonal2IL20rocsparse_fill_mode_0ELj1024EliEEvT2_PKT1_PKS2_21rocsparse_index_base_PS2_Pi
; %bb.0:
	s_load_dword s0, s[4:5], 0x0
	v_lshl_or_b32 v0, s6, 10, v0
	s_waitcnt lgkmcnt(0)
	v_cmp_gt_i32_e32 vcc, s0, v0
	s_and_saveexec_b64 s[0:1], vcc
	s_cbranch_execz .LBB10_8
; %bb.1:
	s_load_dwordx4 s[0:3], s[4:5], 0x8
	s_load_dword s6, s[4:5], 0x18
	v_ashrrev_i32_e32 v1, 31, v0
	v_lshlrev_b64 v[1:2], 3, v[0:1]
	s_mov_b32 s7, 0
	s_waitcnt lgkmcnt(0)
	v_mov_b32_e32 v3, s1
	v_add_co_u32_e32 v1, vcc, s0, v1
	v_addc_co_u32_e32 v2, vcc, v3, v2, vcc
	global_load_dwordx2 v[1:2], v[1:2], off offset:8
	s_not_b64 s[0:1], s[6:7]
	v_mov_b32_e32 v3, s3
	s_lshl_b64 s[0:1], s[0:1], 2
	v_mov_b32_e32 v4, s1
	s_waitcnt vmcnt(0)
	v_lshlrev_b64 v[1:2], 2, v[1:2]
	v_add_co_u32_e32 v1, vcc, s2, v1
	v_addc_co_u32_e32 v2, vcc, v3, v2, vcc
	v_add_co_u32_e32 v1, vcc, s0, v1
	v_addc_co_u32_e32 v2, vcc, v2, v4, vcc
	global_load_dword v1, v[1:2], off
	s_waitcnt vmcnt(0)
	v_subrev_u32_e32 v1, s6, v1
	v_cmp_ne_u32_e32 vcc, v1, v0
	s_and_b64 exec, exec, vcc
	s_cbranch_execz .LBB10_8
; %bb.2:
	s_load_dwordx4 s[0:3], s[4:5], 0x20
	s_mov_b64 s[8:9], exec
	v_add_u32_e32 v0, s6, v0
	s_brev_b32 s6, -2
.LBB10_3:                               ; =>This Inner Loop Header: Depth=1
	s_ff1_i32_b64 s4, s[8:9]
	v_readlane_b32 s7, v0, s4
	s_lshl_b64 s[4:5], 1, s4
	s_min_i32 s6, s6, s7
	s_andn2_b64 s[8:9], s[8:9], s[4:5]
	s_cmp_lg_u64 s[8:9], 0
	s_cbranch_scc1 .LBB10_3
; %bb.4:
	v_mbcnt_lo_u32_b32 v0, exec_lo, 0
	v_mbcnt_hi_u32_b32 v0, exec_hi, v0
	v_cmp_eq_u32_e32 vcc, 0, v0
	s_and_saveexec_b64 s[4:5], vcc
	s_xor_b64 s[4:5], exec, s[4:5]
	s_cbranch_execz .LBB10_6
; %bb.5:
	v_mov_b32_e32 v0, 0
	v_mov_b32_e32 v1, s6
	s_waitcnt lgkmcnt(0)
	global_atomic_smin v0, v1, s[2:3]
.LBB10_6:
	s_or_b64 exec, exec, s[4:5]
	s_waitcnt lgkmcnt(0)
	s_mov_b64 s[2:3], exec
	v_mbcnt_lo_u32_b32 v0, s2, 0
	v_mbcnt_hi_u32_b32 v0, s3, v0
	v_cmp_eq_u32_e32 vcc, 0, v0
	s_and_b64 s[4:5], exec, vcc
	s_mov_b64 exec, s[4:5]
	s_cbranch_execz .LBB10_8
; %bb.7:
	s_bcnt1_i32_b64 s2, s[2:3]
	v_mov_b32_e32 v0, 0
	v_mov_b32_e32 v1, s2
	global_atomic_add v0, v1, s[0:1]
.LBB10_8:
	s_endpgm
	.section	.rodata,"a",@progbits
	.p2align	6, 0x0
	.amdhsa_kernel _ZN9rocsparseL30kernel_count_missing_diagonal2IL20rocsparse_fill_mode_0ELj1024EliEEvT2_PKT1_PKS2_21rocsparse_index_base_PS2_Pi
		.amdhsa_group_segment_fixed_size 0
		.amdhsa_private_segment_fixed_size 0
		.amdhsa_kernarg_size 48
		.amdhsa_user_sgpr_count 6
		.amdhsa_user_sgpr_private_segment_buffer 1
		.amdhsa_user_sgpr_dispatch_ptr 0
		.amdhsa_user_sgpr_queue_ptr 0
		.amdhsa_user_sgpr_kernarg_segment_ptr 1
		.amdhsa_user_sgpr_dispatch_id 0
		.amdhsa_user_sgpr_flat_scratch_init 0
		.amdhsa_user_sgpr_private_segment_size 0
		.amdhsa_uses_dynamic_stack 0
		.amdhsa_system_sgpr_private_segment_wavefront_offset 0
		.amdhsa_system_sgpr_workgroup_id_x 1
		.amdhsa_system_sgpr_workgroup_id_y 0
		.amdhsa_system_sgpr_workgroup_id_z 0
		.amdhsa_system_sgpr_workgroup_info 0
		.amdhsa_system_vgpr_workitem_id 0
		.amdhsa_next_free_vgpr 5
		.amdhsa_next_free_sgpr 10
		.amdhsa_reserve_vcc 1
		.amdhsa_reserve_flat_scratch 0
		.amdhsa_float_round_mode_32 0
		.amdhsa_float_round_mode_16_64 0
		.amdhsa_float_denorm_mode_32 3
		.amdhsa_float_denorm_mode_16_64 3
		.amdhsa_dx10_clamp 1
		.amdhsa_ieee_mode 1
		.amdhsa_fp16_overflow 0
		.amdhsa_exception_fp_ieee_invalid_op 0
		.amdhsa_exception_fp_denorm_src 0
		.amdhsa_exception_fp_ieee_div_zero 0
		.amdhsa_exception_fp_ieee_overflow 0
		.amdhsa_exception_fp_ieee_underflow 0
		.amdhsa_exception_fp_ieee_inexact 0
		.amdhsa_exception_int_div_zero 0
	.end_amdhsa_kernel
	.section	.text._ZN9rocsparseL30kernel_count_missing_diagonal2IL20rocsparse_fill_mode_0ELj1024EliEEvT2_PKT1_PKS2_21rocsparse_index_base_PS2_Pi,"axG",@progbits,_ZN9rocsparseL30kernel_count_missing_diagonal2IL20rocsparse_fill_mode_0ELj1024EliEEvT2_PKT1_PKS2_21rocsparse_index_base_PS2_Pi,comdat
.Lfunc_end10:
	.size	_ZN9rocsparseL30kernel_count_missing_diagonal2IL20rocsparse_fill_mode_0ELj1024EliEEvT2_PKT1_PKS2_21rocsparse_index_base_PS2_Pi, .Lfunc_end10-_ZN9rocsparseL30kernel_count_missing_diagonal2IL20rocsparse_fill_mode_0ELj1024EliEEvT2_PKT1_PKS2_21rocsparse_index_base_PS2_Pi
                                        ; -- End function
	.set _ZN9rocsparseL30kernel_count_missing_diagonal2IL20rocsparse_fill_mode_0ELj1024EliEEvT2_PKT1_PKS2_21rocsparse_index_base_PS2_Pi.num_vgpr, 5
	.set _ZN9rocsparseL30kernel_count_missing_diagonal2IL20rocsparse_fill_mode_0ELj1024EliEEvT2_PKT1_PKS2_21rocsparse_index_base_PS2_Pi.num_agpr, 0
	.set _ZN9rocsparseL30kernel_count_missing_diagonal2IL20rocsparse_fill_mode_0ELj1024EliEEvT2_PKT1_PKS2_21rocsparse_index_base_PS2_Pi.numbered_sgpr, 10
	.set _ZN9rocsparseL30kernel_count_missing_diagonal2IL20rocsparse_fill_mode_0ELj1024EliEEvT2_PKT1_PKS2_21rocsparse_index_base_PS2_Pi.num_named_barrier, 0
	.set _ZN9rocsparseL30kernel_count_missing_diagonal2IL20rocsparse_fill_mode_0ELj1024EliEEvT2_PKT1_PKS2_21rocsparse_index_base_PS2_Pi.private_seg_size, 0
	.set _ZN9rocsparseL30kernel_count_missing_diagonal2IL20rocsparse_fill_mode_0ELj1024EliEEvT2_PKT1_PKS2_21rocsparse_index_base_PS2_Pi.uses_vcc, 1
	.set _ZN9rocsparseL30kernel_count_missing_diagonal2IL20rocsparse_fill_mode_0ELj1024EliEEvT2_PKT1_PKS2_21rocsparse_index_base_PS2_Pi.uses_flat_scratch, 0
	.set _ZN9rocsparseL30kernel_count_missing_diagonal2IL20rocsparse_fill_mode_0ELj1024EliEEvT2_PKT1_PKS2_21rocsparse_index_base_PS2_Pi.has_dyn_sized_stack, 0
	.set _ZN9rocsparseL30kernel_count_missing_diagonal2IL20rocsparse_fill_mode_0ELj1024EliEEvT2_PKT1_PKS2_21rocsparse_index_base_PS2_Pi.has_recursion, 0
	.set _ZN9rocsparseL30kernel_count_missing_diagonal2IL20rocsparse_fill_mode_0ELj1024EliEEvT2_PKT1_PKS2_21rocsparse_index_base_PS2_Pi.has_indirect_call, 0
	.section	.AMDGPU.csdata,"",@progbits
; Kernel info:
; codeLenInByte = 332
; TotalNumSgprs: 14
; NumVgprs: 5
; ScratchSize: 0
; MemoryBound: 0
; FloatMode: 240
; IeeeMode: 1
; LDSByteSize: 0 bytes/workgroup (compile time only)
; SGPRBlocks: 1
; VGPRBlocks: 1
; NumSGPRsForWavesPerEU: 14
; NumVGPRsForWavesPerEU: 5
; Occupancy: 10
; WaveLimiterHint : 1
; COMPUTE_PGM_RSRC2:SCRATCH_EN: 0
; COMPUTE_PGM_RSRC2:USER_SGPR: 6
; COMPUTE_PGM_RSRC2:TRAP_HANDLER: 0
; COMPUTE_PGM_RSRC2:TGID_X_EN: 1
; COMPUTE_PGM_RSRC2:TGID_Y_EN: 0
; COMPUTE_PGM_RSRC2:TGID_Z_EN: 0
; COMPUTE_PGM_RSRC2:TIDIG_COMP_CNT: 0
	.section	.text._ZN9rocsparseL30kernel_count_missing_diagonal2IL20rocsparse_fill_mode_1ELj1024EliEEvT2_PKT1_PKS2_21rocsparse_index_base_PS2_Pi,"axG",@progbits,_ZN9rocsparseL30kernel_count_missing_diagonal2IL20rocsparse_fill_mode_1ELj1024EliEEvT2_PKT1_PKS2_21rocsparse_index_base_PS2_Pi,comdat
	.globl	_ZN9rocsparseL30kernel_count_missing_diagonal2IL20rocsparse_fill_mode_1ELj1024EliEEvT2_PKT1_PKS2_21rocsparse_index_base_PS2_Pi ; -- Begin function _ZN9rocsparseL30kernel_count_missing_diagonal2IL20rocsparse_fill_mode_1ELj1024EliEEvT2_PKT1_PKS2_21rocsparse_index_base_PS2_Pi
	.p2align	8
	.type	_ZN9rocsparseL30kernel_count_missing_diagonal2IL20rocsparse_fill_mode_1ELj1024EliEEvT2_PKT1_PKS2_21rocsparse_index_base_PS2_Pi,@function
_ZN9rocsparseL30kernel_count_missing_diagonal2IL20rocsparse_fill_mode_1ELj1024EliEEvT2_PKT1_PKS2_21rocsparse_index_base_PS2_Pi: ; @_ZN9rocsparseL30kernel_count_missing_diagonal2IL20rocsparse_fill_mode_1ELj1024EliEEvT2_PKT1_PKS2_21rocsparse_index_base_PS2_Pi
; %bb.0:
	s_load_dword s0, s[4:5], 0x0
	v_lshl_or_b32 v0, s6, 10, v0
	s_waitcnt lgkmcnt(0)
	v_cmp_gt_i32_e32 vcc, s0, v0
	s_and_saveexec_b64 s[0:1], vcc
	s_cbranch_execz .LBB11_8
; %bb.1:
	s_load_dwordx4 s[0:3], s[4:5], 0x8
	s_load_dword s8, s[4:5], 0x18
	v_ashrrev_i32_e32 v1, 31, v0
	v_lshlrev_b64 v[1:2], 3, v[0:1]
	s_waitcnt lgkmcnt(0)
	v_mov_b32_e32 v3, s1
	v_add_co_u32_e32 v1, vcc, s0, v1
	v_addc_co_u32_e32 v2, vcc, v3, v2, vcc
	global_load_dwordx2 v[1:2], v[1:2], off
	v_mov_b32_e32 v3, s3
	s_waitcnt vmcnt(0)
	v_subrev_co_u32_e32 v1, vcc, s8, v1
	v_subbrev_co_u32_e32 v2, vcc, 0, v2, vcc
	v_lshlrev_b64 v[1:2], 2, v[1:2]
	v_add_co_u32_e32 v1, vcc, s2, v1
	v_addc_co_u32_e32 v2, vcc, v3, v2, vcc
	global_load_dword v1, v[1:2], off
	s_waitcnt vmcnt(0)
	v_subrev_u32_e32 v1, s8, v1
	v_cmp_ne_u32_e32 vcc, v1, v0
	s_and_b64 exec, exec, vcc
	s_cbranch_execz .LBB11_8
; %bb.2:
	s_load_dwordx4 s[0:3], s[4:5], 0x20
	s_mov_b64 s[6:7], exec
	v_add_u32_e32 v0, s8, v0
	s_brev_b32 s8, -2
.LBB11_3:                               ; =>This Inner Loop Header: Depth=1
	s_ff1_i32_b64 s4, s[6:7]
	v_readlane_b32 s9, v0, s4
	s_lshl_b64 s[4:5], 1, s4
	s_min_i32 s8, s8, s9
	s_andn2_b64 s[6:7], s[6:7], s[4:5]
	s_cmp_lg_u64 s[6:7], 0
	s_cbranch_scc1 .LBB11_3
; %bb.4:
	v_mbcnt_lo_u32_b32 v0, exec_lo, 0
	v_mbcnt_hi_u32_b32 v0, exec_hi, v0
	v_cmp_eq_u32_e32 vcc, 0, v0
	s_and_saveexec_b64 s[4:5], vcc
	s_xor_b64 s[4:5], exec, s[4:5]
	s_cbranch_execz .LBB11_6
; %bb.5:
	v_mov_b32_e32 v0, 0
	v_mov_b32_e32 v1, s8
	s_waitcnt lgkmcnt(0)
	global_atomic_smin v0, v1, s[2:3]
.LBB11_6:
	s_or_b64 exec, exec, s[4:5]
	s_waitcnt lgkmcnt(0)
	s_mov_b64 s[2:3], exec
	v_mbcnt_lo_u32_b32 v0, s2, 0
	v_mbcnt_hi_u32_b32 v0, s3, v0
	v_cmp_eq_u32_e32 vcc, 0, v0
	s_and_b64 s[4:5], exec, vcc
	s_mov_b64 exec, s[4:5]
	s_cbranch_execz .LBB11_8
; %bb.7:
	s_bcnt1_i32_b64 s2, s[2:3]
	v_mov_b32_e32 v0, 0
	v_mov_b32_e32 v1, s2
	global_atomic_add v0, v1, s[0:1]
.LBB11_8:
	s_endpgm
	.section	.rodata,"a",@progbits
	.p2align	6, 0x0
	.amdhsa_kernel _ZN9rocsparseL30kernel_count_missing_diagonal2IL20rocsparse_fill_mode_1ELj1024EliEEvT2_PKT1_PKS2_21rocsparse_index_base_PS2_Pi
		.amdhsa_group_segment_fixed_size 0
		.amdhsa_private_segment_fixed_size 0
		.amdhsa_kernarg_size 48
		.amdhsa_user_sgpr_count 6
		.amdhsa_user_sgpr_private_segment_buffer 1
		.amdhsa_user_sgpr_dispatch_ptr 0
		.amdhsa_user_sgpr_queue_ptr 0
		.amdhsa_user_sgpr_kernarg_segment_ptr 1
		.amdhsa_user_sgpr_dispatch_id 0
		.amdhsa_user_sgpr_flat_scratch_init 0
		.amdhsa_user_sgpr_private_segment_size 0
		.amdhsa_uses_dynamic_stack 0
		.amdhsa_system_sgpr_private_segment_wavefront_offset 0
		.amdhsa_system_sgpr_workgroup_id_x 1
		.amdhsa_system_sgpr_workgroup_id_y 0
		.amdhsa_system_sgpr_workgroup_id_z 0
		.amdhsa_system_sgpr_workgroup_info 0
		.amdhsa_system_vgpr_workitem_id 0
		.amdhsa_next_free_vgpr 4
		.amdhsa_next_free_sgpr 10
		.amdhsa_reserve_vcc 1
		.amdhsa_reserve_flat_scratch 0
		.amdhsa_float_round_mode_32 0
		.amdhsa_float_round_mode_16_64 0
		.amdhsa_float_denorm_mode_32 3
		.amdhsa_float_denorm_mode_16_64 3
		.amdhsa_dx10_clamp 1
		.amdhsa_ieee_mode 1
		.amdhsa_fp16_overflow 0
		.amdhsa_exception_fp_ieee_invalid_op 0
		.amdhsa_exception_fp_denorm_src 0
		.amdhsa_exception_fp_ieee_div_zero 0
		.amdhsa_exception_fp_ieee_overflow 0
		.amdhsa_exception_fp_ieee_underflow 0
		.amdhsa_exception_fp_ieee_inexact 0
		.amdhsa_exception_int_div_zero 0
	.end_amdhsa_kernel
	.section	.text._ZN9rocsparseL30kernel_count_missing_diagonal2IL20rocsparse_fill_mode_1ELj1024EliEEvT2_PKT1_PKS2_21rocsparse_index_base_PS2_Pi,"axG",@progbits,_ZN9rocsparseL30kernel_count_missing_diagonal2IL20rocsparse_fill_mode_1ELj1024EliEEvT2_PKT1_PKS2_21rocsparse_index_base_PS2_Pi,comdat
.Lfunc_end11:
	.size	_ZN9rocsparseL30kernel_count_missing_diagonal2IL20rocsparse_fill_mode_1ELj1024EliEEvT2_PKT1_PKS2_21rocsparse_index_base_PS2_Pi, .Lfunc_end11-_ZN9rocsparseL30kernel_count_missing_diagonal2IL20rocsparse_fill_mode_1ELj1024EliEEvT2_PKT1_PKS2_21rocsparse_index_base_PS2_Pi
                                        ; -- End function
	.set _ZN9rocsparseL30kernel_count_missing_diagonal2IL20rocsparse_fill_mode_1ELj1024EliEEvT2_PKT1_PKS2_21rocsparse_index_base_PS2_Pi.num_vgpr, 4
	.set _ZN9rocsparseL30kernel_count_missing_diagonal2IL20rocsparse_fill_mode_1ELj1024EliEEvT2_PKT1_PKS2_21rocsparse_index_base_PS2_Pi.num_agpr, 0
	.set _ZN9rocsparseL30kernel_count_missing_diagonal2IL20rocsparse_fill_mode_1ELj1024EliEEvT2_PKT1_PKS2_21rocsparse_index_base_PS2_Pi.numbered_sgpr, 10
	.set _ZN9rocsparseL30kernel_count_missing_diagonal2IL20rocsparse_fill_mode_1ELj1024EliEEvT2_PKT1_PKS2_21rocsparse_index_base_PS2_Pi.num_named_barrier, 0
	.set _ZN9rocsparseL30kernel_count_missing_diagonal2IL20rocsparse_fill_mode_1ELj1024EliEEvT2_PKT1_PKS2_21rocsparse_index_base_PS2_Pi.private_seg_size, 0
	.set _ZN9rocsparseL30kernel_count_missing_diagonal2IL20rocsparse_fill_mode_1ELj1024EliEEvT2_PKT1_PKS2_21rocsparse_index_base_PS2_Pi.uses_vcc, 1
	.set _ZN9rocsparseL30kernel_count_missing_diagonal2IL20rocsparse_fill_mode_1ELj1024EliEEvT2_PKT1_PKS2_21rocsparse_index_base_PS2_Pi.uses_flat_scratch, 0
	.set _ZN9rocsparseL30kernel_count_missing_diagonal2IL20rocsparse_fill_mode_1ELj1024EliEEvT2_PKT1_PKS2_21rocsparse_index_base_PS2_Pi.has_dyn_sized_stack, 0
	.set _ZN9rocsparseL30kernel_count_missing_diagonal2IL20rocsparse_fill_mode_1ELj1024EliEEvT2_PKT1_PKS2_21rocsparse_index_base_PS2_Pi.has_recursion, 0
	.set _ZN9rocsparseL30kernel_count_missing_diagonal2IL20rocsparse_fill_mode_1ELj1024EliEEvT2_PKT1_PKS2_21rocsparse_index_base_PS2_Pi.has_indirect_call, 0
	.section	.AMDGPU.csdata,"",@progbits
; Kernel info:
; codeLenInByte = 316
; TotalNumSgprs: 14
; NumVgprs: 4
; ScratchSize: 0
; MemoryBound: 0
; FloatMode: 240
; IeeeMode: 1
; LDSByteSize: 0 bytes/workgroup (compile time only)
; SGPRBlocks: 1
; VGPRBlocks: 0
; NumSGPRsForWavesPerEU: 14
; NumVGPRsForWavesPerEU: 4
; Occupancy: 10
; WaveLimiterHint : 1
; COMPUTE_PGM_RSRC2:SCRATCH_EN: 0
; COMPUTE_PGM_RSRC2:USER_SGPR: 6
; COMPUTE_PGM_RSRC2:TRAP_HANDLER: 0
; COMPUTE_PGM_RSRC2:TGID_X_EN: 1
; COMPUTE_PGM_RSRC2:TGID_Y_EN: 0
; COMPUTE_PGM_RSRC2:TGID_Z_EN: 0
; COMPUTE_PGM_RSRC2:TIDIG_COMP_CNT: 0
	.section	.text._ZN9rocsparseL32kernel_count_diagonal_triangularIL20rocsparse_fill_mode_0ELj1024EliEEvT2_PKT1_PKS2_21rocsparse_index_base_PS2_,"axG",@progbits,_ZN9rocsparseL32kernel_count_diagonal_triangularIL20rocsparse_fill_mode_0ELj1024EliEEvT2_PKT1_PKS2_21rocsparse_index_base_PS2_,comdat
	.globl	_ZN9rocsparseL32kernel_count_diagonal_triangularIL20rocsparse_fill_mode_0ELj1024EliEEvT2_PKT1_PKS2_21rocsparse_index_base_PS2_ ; -- Begin function _ZN9rocsparseL32kernel_count_diagonal_triangularIL20rocsparse_fill_mode_0ELj1024EliEEvT2_PKT1_PKS2_21rocsparse_index_base_PS2_
	.p2align	8
	.type	_ZN9rocsparseL32kernel_count_diagonal_triangularIL20rocsparse_fill_mode_0ELj1024EliEEvT2_PKT1_PKS2_21rocsparse_index_base_PS2_,@function
_ZN9rocsparseL32kernel_count_diagonal_triangularIL20rocsparse_fill_mode_0ELj1024EliEEvT2_PKT1_PKS2_21rocsparse_index_base_PS2_: ; @_ZN9rocsparseL32kernel_count_diagonal_triangularIL20rocsparse_fill_mode_0ELj1024EliEEvT2_PKT1_PKS2_21rocsparse_index_base_PS2_
; %bb.0:
	s_load_dword s0, s[4:5], 0x0
	v_lshl_or_b32 v0, s6, 10, v0
	s_waitcnt lgkmcnt(0)
	v_cmp_gt_i32_e32 vcc, s0, v0
	s_and_saveexec_b64 s[0:1], vcc
	s_cbranch_execz .LBB12_4
; %bb.1:
	s_load_dwordx4 s[0:3], s[4:5], 0x8
	s_load_dword s6, s[4:5], 0x18
	v_ashrrev_i32_e32 v1, 31, v0
	v_lshlrev_b64 v[1:2], 3, v[0:1]
	s_mov_b32 s7, 0
	s_waitcnt lgkmcnt(0)
	v_mov_b32_e32 v3, s1
	v_add_co_u32_e32 v1, vcc, s0, v1
	v_addc_co_u32_e32 v2, vcc, v3, v2, vcc
	global_load_dwordx2 v[1:2], v[1:2], off offset:8
	s_not_b64 s[0:1], s[6:7]
	v_mov_b32_e32 v3, s3
	s_lshl_b64 s[0:1], s[0:1], 2
	v_mov_b32_e32 v4, s1
	s_waitcnt vmcnt(0)
	v_lshlrev_b64 v[1:2], 2, v[1:2]
	v_add_co_u32_e32 v1, vcc, s2, v1
	v_addc_co_u32_e32 v2, vcc, v3, v2, vcc
	v_add_co_u32_e32 v1, vcc, s0, v1
	v_addc_co_u32_e32 v2, vcc, v2, v4, vcc
	global_load_dword v1, v[1:2], off
	s_waitcnt vmcnt(0)
	v_subrev_u32_e32 v1, s6, v1
	v_cmp_eq_u32_e32 vcc, v1, v0
	s_and_b64 exec, exec, vcc
	s_cbranch_execz .LBB12_4
; %bb.2:
	s_mov_b64 s[0:1], exec
	v_mbcnt_lo_u32_b32 v0, s0, 0
	v_mbcnt_hi_u32_b32 v0, s1, v0
	v_cmp_eq_u32_e32 vcc, 0, v0
	s_and_b64 s[2:3], exec, vcc
	s_mov_b64 exec, s[2:3]
	s_cbranch_execz .LBB12_4
; %bb.3:
	s_load_dwordx2 s[2:3], s[4:5], 0x20
	s_bcnt1_i32_b64 s0, s[0:1]
	v_mov_b32_e32 v0, 0
	v_mov_b32_e32 v1, s0
	s_waitcnt lgkmcnt(0)
	global_atomic_add v0, v1, s[2:3]
.LBB12_4:
	s_endpgm
	.section	.rodata,"a",@progbits
	.p2align	6, 0x0
	.amdhsa_kernel _ZN9rocsparseL32kernel_count_diagonal_triangularIL20rocsparse_fill_mode_0ELj1024EliEEvT2_PKT1_PKS2_21rocsparse_index_base_PS2_
		.amdhsa_group_segment_fixed_size 0
		.amdhsa_private_segment_fixed_size 0
		.amdhsa_kernarg_size 40
		.amdhsa_user_sgpr_count 6
		.amdhsa_user_sgpr_private_segment_buffer 1
		.amdhsa_user_sgpr_dispatch_ptr 0
		.amdhsa_user_sgpr_queue_ptr 0
		.amdhsa_user_sgpr_kernarg_segment_ptr 1
		.amdhsa_user_sgpr_dispatch_id 0
		.amdhsa_user_sgpr_flat_scratch_init 0
		.amdhsa_user_sgpr_private_segment_size 0
		.amdhsa_uses_dynamic_stack 0
		.amdhsa_system_sgpr_private_segment_wavefront_offset 0
		.amdhsa_system_sgpr_workgroup_id_x 1
		.amdhsa_system_sgpr_workgroup_id_y 0
		.amdhsa_system_sgpr_workgroup_id_z 0
		.amdhsa_system_sgpr_workgroup_info 0
		.amdhsa_system_vgpr_workitem_id 0
		.amdhsa_next_free_vgpr 5
		.amdhsa_next_free_sgpr 8
		.amdhsa_reserve_vcc 1
		.amdhsa_reserve_flat_scratch 0
		.amdhsa_float_round_mode_32 0
		.amdhsa_float_round_mode_16_64 0
		.amdhsa_float_denorm_mode_32 3
		.amdhsa_float_denorm_mode_16_64 3
		.amdhsa_dx10_clamp 1
		.amdhsa_ieee_mode 1
		.amdhsa_fp16_overflow 0
		.amdhsa_exception_fp_ieee_invalid_op 0
		.amdhsa_exception_fp_denorm_src 0
		.amdhsa_exception_fp_ieee_div_zero 0
		.amdhsa_exception_fp_ieee_overflow 0
		.amdhsa_exception_fp_ieee_underflow 0
		.amdhsa_exception_fp_ieee_inexact 0
		.amdhsa_exception_int_div_zero 0
	.end_amdhsa_kernel
	.section	.text._ZN9rocsparseL32kernel_count_diagonal_triangularIL20rocsparse_fill_mode_0ELj1024EliEEvT2_PKT1_PKS2_21rocsparse_index_base_PS2_,"axG",@progbits,_ZN9rocsparseL32kernel_count_diagonal_triangularIL20rocsparse_fill_mode_0ELj1024EliEEvT2_PKT1_PKS2_21rocsparse_index_base_PS2_,comdat
.Lfunc_end12:
	.size	_ZN9rocsparseL32kernel_count_diagonal_triangularIL20rocsparse_fill_mode_0ELj1024EliEEvT2_PKT1_PKS2_21rocsparse_index_base_PS2_, .Lfunc_end12-_ZN9rocsparseL32kernel_count_diagonal_triangularIL20rocsparse_fill_mode_0ELj1024EliEEvT2_PKT1_PKS2_21rocsparse_index_base_PS2_
                                        ; -- End function
	.set _ZN9rocsparseL32kernel_count_diagonal_triangularIL20rocsparse_fill_mode_0ELj1024EliEEvT2_PKT1_PKS2_21rocsparse_index_base_PS2_.num_vgpr, 5
	.set _ZN9rocsparseL32kernel_count_diagonal_triangularIL20rocsparse_fill_mode_0ELj1024EliEEvT2_PKT1_PKS2_21rocsparse_index_base_PS2_.num_agpr, 0
	.set _ZN9rocsparseL32kernel_count_diagonal_triangularIL20rocsparse_fill_mode_0ELj1024EliEEvT2_PKT1_PKS2_21rocsparse_index_base_PS2_.numbered_sgpr, 8
	.set _ZN9rocsparseL32kernel_count_diagonal_triangularIL20rocsparse_fill_mode_0ELj1024EliEEvT2_PKT1_PKS2_21rocsparse_index_base_PS2_.num_named_barrier, 0
	.set _ZN9rocsparseL32kernel_count_diagonal_triangularIL20rocsparse_fill_mode_0ELj1024EliEEvT2_PKT1_PKS2_21rocsparse_index_base_PS2_.private_seg_size, 0
	.set _ZN9rocsparseL32kernel_count_diagonal_triangularIL20rocsparse_fill_mode_0ELj1024EliEEvT2_PKT1_PKS2_21rocsparse_index_base_PS2_.uses_vcc, 1
	.set _ZN9rocsparseL32kernel_count_diagonal_triangularIL20rocsparse_fill_mode_0ELj1024EliEEvT2_PKT1_PKS2_21rocsparse_index_base_PS2_.uses_flat_scratch, 0
	.set _ZN9rocsparseL32kernel_count_diagonal_triangularIL20rocsparse_fill_mode_0ELj1024EliEEvT2_PKT1_PKS2_21rocsparse_index_base_PS2_.has_dyn_sized_stack, 0
	.set _ZN9rocsparseL32kernel_count_diagonal_triangularIL20rocsparse_fill_mode_0ELj1024EliEEvT2_PKT1_PKS2_21rocsparse_index_base_PS2_.has_recursion, 0
	.set _ZN9rocsparseL32kernel_count_diagonal_triangularIL20rocsparse_fill_mode_0ELj1024EliEEvT2_PKT1_PKS2_21rocsparse_index_base_PS2_.has_indirect_call, 0
	.section	.AMDGPU.csdata,"",@progbits
; Kernel info:
; codeLenInByte = 232
; TotalNumSgprs: 12
; NumVgprs: 5
; ScratchSize: 0
; MemoryBound: 0
; FloatMode: 240
; IeeeMode: 1
; LDSByteSize: 0 bytes/workgroup (compile time only)
; SGPRBlocks: 1
; VGPRBlocks: 1
; NumSGPRsForWavesPerEU: 12
; NumVGPRsForWavesPerEU: 5
; Occupancy: 10
; WaveLimiterHint : 1
; COMPUTE_PGM_RSRC2:SCRATCH_EN: 0
; COMPUTE_PGM_RSRC2:USER_SGPR: 6
; COMPUTE_PGM_RSRC2:TRAP_HANDLER: 0
; COMPUTE_PGM_RSRC2:TGID_X_EN: 1
; COMPUTE_PGM_RSRC2:TGID_Y_EN: 0
; COMPUTE_PGM_RSRC2:TGID_Z_EN: 0
; COMPUTE_PGM_RSRC2:TIDIG_COMP_CNT: 0
	.section	.text._ZN9rocsparseL32kernel_count_diagonal_triangularIL20rocsparse_fill_mode_1ELj1024EliEEvT2_PKT1_PKS2_21rocsparse_index_base_PS2_,"axG",@progbits,_ZN9rocsparseL32kernel_count_diagonal_triangularIL20rocsparse_fill_mode_1ELj1024EliEEvT2_PKT1_PKS2_21rocsparse_index_base_PS2_,comdat
	.globl	_ZN9rocsparseL32kernel_count_diagonal_triangularIL20rocsparse_fill_mode_1ELj1024EliEEvT2_PKT1_PKS2_21rocsparse_index_base_PS2_ ; -- Begin function _ZN9rocsparseL32kernel_count_diagonal_triangularIL20rocsparse_fill_mode_1ELj1024EliEEvT2_PKT1_PKS2_21rocsparse_index_base_PS2_
	.p2align	8
	.type	_ZN9rocsparseL32kernel_count_diagonal_triangularIL20rocsparse_fill_mode_1ELj1024EliEEvT2_PKT1_PKS2_21rocsparse_index_base_PS2_,@function
_ZN9rocsparseL32kernel_count_diagonal_triangularIL20rocsparse_fill_mode_1ELj1024EliEEvT2_PKT1_PKS2_21rocsparse_index_base_PS2_: ; @_ZN9rocsparseL32kernel_count_diagonal_triangularIL20rocsparse_fill_mode_1ELj1024EliEEvT2_PKT1_PKS2_21rocsparse_index_base_PS2_
; %bb.0:
	s_load_dword s0, s[4:5], 0x0
	v_lshl_or_b32 v0, s6, 10, v0
	s_waitcnt lgkmcnt(0)
	v_cmp_gt_i32_e32 vcc, s0, v0
	s_and_saveexec_b64 s[0:1], vcc
	s_cbranch_execz .LBB13_4
; %bb.1:
	s_load_dwordx4 s[0:3], s[4:5], 0x8
	s_load_dword s6, s[4:5], 0x18
	v_ashrrev_i32_e32 v1, 31, v0
	v_lshlrev_b64 v[1:2], 3, v[0:1]
	s_waitcnt lgkmcnt(0)
	v_mov_b32_e32 v3, s1
	v_add_co_u32_e32 v1, vcc, s0, v1
	v_addc_co_u32_e32 v2, vcc, v3, v2, vcc
	global_load_dwordx2 v[1:2], v[1:2], off
	v_mov_b32_e32 v3, s3
	s_waitcnt vmcnt(0)
	v_subrev_co_u32_e32 v1, vcc, s6, v1
	v_subbrev_co_u32_e32 v2, vcc, 0, v2, vcc
	v_lshlrev_b64 v[1:2], 2, v[1:2]
	v_add_co_u32_e32 v1, vcc, s2, v1
	v_addc_co_u32_e32 v2, vcc, v3, v2, vcc
	global_load_dword v1, v[1:2], off
	s_waitcnt vmcnt(0)
	v_subrev_u32_e32 v1, s6, v1
	v_cmp_eq_u32_e32 vcc, v1, v0
	s_and_b64 exec, exec, vcc
	s_cbranch_execz .LBB13_4
; %bb.2:
	s_mov_b64 s[0:1], exec
	v_mbcnt_lo_u32_b32 v0, s0, 0
	v_mbcnt_hi_u32_b32 v0, s1, v0
	v_cmp_eq_u32_e32 vcc, 0, v0
	s_and_b64 s[2:3], exec, vcc
	s_mov_b64 exec, s[2:3]
	s_cbranch_execz .LBB13_4
; %bb.3:
	s_load_dwordx2 s[2:3], s[4:5], 0x20
	s_bcnt1_i32_b64 s0, s[0:1]
	v_mov_b32_e32 v0, 0
	v_mov_b32_e32 v1, s0
	s_waitcnt lgkmcnt(0)
	global_atomic_add v0, v1, s[2:3]
.LBB13_4:
	s_endpgm
	.section	.rodata,"a",@progbits
	.p2align	6, 0x0
	.amdhsa_kernel _ZN9rocsparseL32kernel_count_diagonal_triangularIL20rocsparse_fill_mode_1ELj1024EliEEvT2_PKT1_PKS2_21rocsparse_index_base_PS2_
		.amdhsa_group_segment_fixed_size 0
		.amdhsa_private_segment_fixed_size 0
		.amdhsa_kernarg_size 40
		.amdhsa_user_sgpr_count 6
		.amdhsa_user_sgpr_private_segment_buffer 1
		.amdhsa_user_sgpr_dispatch_ptr 0
		.amdhsa_user_sgpr_queue_ptr 0
		.amdhsa_user_sgpr_kernarg_segment_ptr 1
		.amdhsa_user_sgpr_dispatch_id 0
		.amdhsa_user_sgpr_flat_scratch_init 0
		.amdhsa_user_sgpr_private_segment_size 0
		.amdhsa_uses_dynamic_stack 0
		.amdhsa_system_sgpr_private_segment_wavefront_offset 0
		.amdhsa_system_sgpr_workgroup_id_x 1
		.amdhsa_system_sgpr_workgroup_id_y 0
		.amdhsa_system_sgpr_workgroup_id_z 0
		.amdhsa_system_sgpr_workgroup_info 0
		.amdhsa_system_vgpr_workitem_id 0
		.amdhsa_next_free_vgpr 4
		.amdhsa_next_free_sgpr 7
		.amdhsa_reserve_vcc 1
		.amdhsa_reserve_flat_scratch 0
		.amdhsa_float_round_mode_32 0
		.amdhsa_float_round_mode_16_64 0
		.amdhsa_float_denorm_mode_32 3
		.amdhsa_float_denorm_mode_16_64 3
		.amdhsa_dx10_clamp 1
		.amdhsa_ieee_mode 1
		.amdhsa_fp16_overflow 0
		.amdhsa_exception_fp_ieee_invalid_op 0
		.amdhsa_exception_fp_denorm_src 0
		.amdhsa_exception_fp_ieee_div_zero 0
		.amdhsa_exception_fp_ieee_overflow 0
		.amdhsa_exception_fp_ieee_underflow 0
		.amdhsa_exception_fp_ieee_inexact 0
		.amdhsa_exception_int_div_zero 0
	.end_amdhsa_kernel
	.section	.text._ZN9rocsparseL32kernel_count_diagonal_triangularIL20rocsparse_fill_mode_1ELj1024EliEEvT2_PKT1_PKS2_21rocsparse_index_base_PS2_,"axG",@progbits,_ZN9rocsparseL32kernel_count_diagonal_triangularIL20rocsparse_fill_mode_1ELj1024EliEEvT2_PKT1_PKS2_21rocsparse_index_base_PS2_,comdat
.Lfunc_end13:
	.size	_ZN9rocsparseL32kernel_count_diagonal_triangularIL20rocsparse_fill_mode_1ELj1024EliEEvT2_PKT1_PKS2_21rocsparse_index_base_PS2_, .Lfunc_end13-_ZN9rocsparseL32kernel_count_diagonal_triangularIL20rocsparse_fill_mode_1ELj1024EliEEvT2_PKT1_PKS2_21rocsparse_index_base_PS2_
                                        ; -- End function
	.set _ZN9rocsparseL32kernel_count_diagonal_triangularIL20rocsparse_fill_mode_1ELj1024EliEEvT2_PKT1_PKS2_21rocsparse_index_base_PS2_.num_vgpr, 4
	.set _ZN9rocsparseL32kernel_count_diagonal_triangularIL20rocsparse_fill_mode_1ELj1024EliEEvT2_PKT1_PKS2_21rocsparse_index_base_PS2_.num_agpr, 0
	.set _ZN9rocsparseL32kernel_count_diagonal_triangularIL20rocsparse_fill_mode_1ELj1024EliEEvT2_PKT1_PKS2_21rocsparse_index_base_PS2_.numbered_sgpr, 7
	.set _ZN9rocsparseL32kernel_count_diagonal_triangularIL20rocsparse_fill_mode_1ELj1024EliEEvT2_PKT1_PKS2_21rocsparse_index_base_PS2_.num_named_barrier, 0
	.set _ZN9rocsparseL32kernel_count_diagonal_triangularIL20rocsparse_fill_mode_1ELj1024EliEEvT2_PKT1_PKS2_21rocsparse_index_base_PS2_.private_seg_size, 0
	.set _ZN9rocsparseL32kernel_count_diagonal_triangularIL20rocsparse_fill_mode_1ELj1024EliEEvT2_PKT1_PKS2_21rocsparse_index_base_PS2_.uses_vcc, 1
	.set _ZN9rocsparseL32kernel_count_diagonal_triangularIL20rocsparse_fill_mode_1ELj1024EliEEvT2_PKT1_PKS2_21rocsparse_index_base_PS2_.uses_flat_scratch, 0
	.set _ZN9rocsparseL32kernel_count_diagonal_triangularIL20rocsparse_fill_mode_1ELj1024EliEEvT2_PKT1_PKS2_21rocsparse_index_base_PS2_.has_dyn_sized_stack, 0
	.set _ZN9rocsparseL32kernel_count_diagonal_triangularIL20rocsparse_fill_mode_1ELj1024EliEEvT2_PKT1_PKS2_21rocsparse_index_base_PS2_.has_recursion, 0
	.set _ZN9rocsparseL32kernel_count_diagonal_triangularIL20rocsparse_fill_mode_1ELj1024EliEEvT2_PKT1_PKS2_21rocsparse_index_base_PS2_.has_indirect_call, 0
	.section	.AMDGPU.csdata,"",@progbits
; Kernel info:
; codeLenInByte = 216
; TotalNumSgprs: 11
; NumVgprs: 4
; ScratchSize: 0
; MemoryBound: 0
; FloatMode: 240
; IeeeMode: 1
; LDSByteSize: 0 bytes/workgroup (compile time only)
; SGPRBlocks: 1
; VGPRBlocks: 0
; NumSGPRsForWavesPerEU: 11
; NumVGPRsForWavesPerEU: 4
; Occupancy: 10
; WaveLimiterHint : 1
; COMPUTE_PGM_RSRC2:SCRATCH_EN: 0
; COMPUTE_PGM_RSRC2:USER_SGPR: 6
; COMPUTE_PGM_RSRC2:TRAP_HANDLER: 0
; COMPUTE_PGM_RSRC2:TGID_X_EN: 1
; COMPUTE_PGM_RSRC2:TGID_Y_EN: 0
; COMPUTE_PGM_RSRC2:TGID_Z_EN: 0
; COMPUTE_PGM_RSRC2:TIDIG_COMP_CNT: 0
	.section	.text._ZN9rocsparseL19kernel_ptr_end_unitILj1024EllEEvT1_PKT0_PKS1_PS2_21rocsparse_index_base_,"axG",@progbits,_ZN9rocsparseL19kernel_ptr_end_unitILj1024EllEEvT1_PKT0_PKS1_PS2_21rocsparse_index_base_,comdat
	.globl	_ZN9rocsparseL19kernel_ptr_end_unitILj1024EllEEvT1_PKT0_PKS1_PS2_21rocsparse_index_base_ ; -- Begin function _ZN9rocsparseL19kernel_ptr_end_unitILj1024EllEEvT1_PKT0_PKS1_PS2_21rocsparse_index_base_
	.p2align	8
	.type	_ZN9rocsparseL19kernel_ptr_end_unitILj1024EllEEvT1_PKT0_PKS1_PS2_21rocsparse_index_base_,@function
_ZN9rocsparseL19kernel_ptr_end_unitILj1024EllEEvT1_PKT0_PKS1_PS2_21rocsparse_index_base_: ; @_ZN9rocsparseL19kernel_ptr_end_unitILj1024EllEEvT1_PKT0_PKS1_PS2_21rocsparse_index_base_
; %bb.0:
	s_load_dwordx2 s[0:1], s[4:5], 0x0
	v_lshl_or_b32 v6, s6, 10, v0
	v_mov_b32_e32 v7, 0
	s_waitcnt lgkmcnt(0)
	v_cmp_gt_i64_e32 vcc, s[0:1], v[6:7]
	s_and_saveexec_b64 s[0:1], vcc
	s_cbranch_execz .LBB14_8
; %bb.1:
	s_load_dwordx2 s[0:1], s[4:5], 0x8
	s_load_dwordx2 s[2:3], s[4:5], 0x18
	v_lshlrev_b64 v[4:5], 3, v[6:7]
	s_waitcnt lgkmcnt(0)
	v_mov_b32_e32 v1, s1
	v_add_co_u32_e32 v0, vcc, s0, v4
	v_addc_co_u32_e32 v1, vcc, v1, v5, vcc
	global_load_dwordx4 v[0:3], v[0:1], off
	v_mov_b32_e32 v7, s3
	v_add_co_u32_e32 v4, vcc, s2, v4
	v_addc_co_u32_e32 v5, vcc, v7, v5, vcc
	s_waitcnt vmcnt(0)
	v_cmp_lt_i64_e32 vcc, v[0:1], v[2:3]
	global_store_dwordx2 v[4:5], v[2:3], off
	s_and_b64 exec, exec, vcc
	s_cbranch_execz .LBB14_8
; %bb.2:
	s_load_dword s0, s[4:5], 0x20
	s_load_dwordx2 s[2:3], s[4:5], 0x10
	s_mov_b32 s1, 0
                                        ; implicit-def: $sgpr8_sgpr9
                                        ; implicit-def: $sgpr6_sgpr7
	s_waitcnt lgkmcnt(0)
	v_subrev_co_u32_e32 v2, vcc, s0, v2
	v_subbrev_co_u32_e32 v3, vcc, 0, v3, vcc
	v_add_co_u32_e32 v6, vcc, s0, v6
	v_addc_co_u32_e64 v7, s[4:5], 0, 0, vcc
	v_subrev_co_u32_e32 v8, vcc, s0, v0
	v_subbrev_co_u32_e32 v9, vcc, 0, v1, vcc
	v_lshlrev_b64 v[0:1], 3, v[0:1]
	s_lshl_b64 s[4:5], s[0:1], 3
	v_mov_b32_e32 v10, s5
	v_subrev_co_u32_e32 v0, vcc, s4, v0
	v_subb_co_u32_e32 v1, vcc, v1, v10, vcc
	v_mov_b32_e32 v10, s3
	v_add_co_u32_e32 v0, vcc, s2, v0
	v_addc_co_u32_e32 v1, vcc, v10, v1, vcc
	s_mov_b64 s[2:3], 0
                                        ; implicit-def: $sgpr4_sgpr5
	s_branch .LBB14_4
.LBB14_3:                               ;   in Loop: Header=BB14_4 Depth=1
	s_or_b64 exec, exec, s[10:11]
	s_and_b64 s[10:11], exec, s[8:9]
	s_or_b64 s[2:3], s[10:11], s[2:3]
	s_andn2_b64 s[4:5], s[4:5], exec
	s_and_b64 s[10:11], s[6:7], exec
	s_or_b64 s[4:5], s[4:5], s[10:11]
	s_andn2_b64 exec, exec, s[2:3]
	s_cbranch_execz .LBB14_6
.LBB14_4:                               ; =>This Inner Loop Header: Depth=1
	global_load_dwordx2 v[12:13], v[0:1], off
	v_mov_b32_e32 v11, v9
	v_mov_b32_e32 v10, v8
	s_or_b64 s[6:7], s[6:7], exec
	s_or_b64 s[8:9], s[8:9], exec
                                        ; implicit-def: $vgpr8_vgpr9
	s_waitcnt vmcnt(0)
	v_cmp_lt_i64_e32 vcc, v[12:13], v[6:7]
	s_and_saveexec_b64 s[10:11], vcc
	s_cbranch_execz .LBB14_3
; %bb.5:                                ;   in Loop: Header=BB14_4 Depth=1
	v_add_co_u32_e32 v8, vcc, 1, v10
	v_addc_co_u32_e32 v9, vcc, 0, v11, vcc
	v_add_co_u32_e32 v0, vcc, 8, v0
	v_addc_co_u32_e32 v1, vcc, 0, v1, vcc
	v_cmp_ge_i64_e32 vcc, v[8:9], v[2:3]
	s_andn2_b64 s[8:9], s[8:9], exec
	s_and_b64 s[12:13], vcc, exec
	s_andn2_b64 s[6:7], s[6:7], exec
	s_or_b64 s[8:9], s[8:9], s[12:13]
	s_branch .LBB14_3
.LBB14_6:
	s_or_b64 exec, exec, s[2:3]
	s_and_saveexec_b64 s[2:3], s[4:5]
	s_xor_b64 s[2:3], exec, s[2:3]
	s_cbranch_execz .LBB14_8
; %bb.7:
	v_add_co_u32_e32 v0, vcc, s0, v10
	v_addc_co_u32_e32 v1, vcc, 0, v11, vcc
	global_store_dwordx2 v[4:5], v[0:1], off
.LBB14_8:
	s_endpgm
	.section	.rodata,"a",@progbits
	.p2align	6, 0x0
	.amdhsa_kernel _ZN9rocsparseL19kernel_ptr_end_unitILj1024EllEEvT1_PKT0_PKS1_PS2_21rocsparse_index_base_
		.amdhsa_group_segment_fixed_size 0
		.amdhsa_private_segment_fixed_size 0
		.amdhsa_kernarg_size 36
		.amdhsa_user_sgpr_count 6
		.amdhsa_user_sgpr_private_segment_buffer 1
		.amdhsa_user_sgpr_dispatch_ptr 0
		.amdhsa_user_sgpr_queue_ptr 0
		.amdhsa_user_sgpr_kernarg_segment_ptr 1
		.amdhsa_user_sgpr_dispatch_id 0
		.amdhsa_user_sgpr_flat_scratch_init 0
		.amdhsa_user_sgpr_private_segment_size 0
		.amdhsa_uses_dynamic_stack 0
		.amdhsa_system_sgpr_private_segment_wavefront_offset 0
		.amdhsa_system_sgpr_workgroup_id_x 1
		.amdhsa_system_sgpr_workgroup_id_y 0
		.amdhsa_system_sgpr_workgroup_id_z 0
		.amdhsa_system_sgpr_workgroup_info 0
		.amdhsa_system_vgpr_workitem_id 0
		.amdhsa_next_free_vgpr 14
		.amdhsa_next_free_sgpr 14
		.amdhsa_reserve_vcc 1
		.amdhsa_reserve_flat_scratch 0
		.amdhsa_float_round_mode_32 0
		.amdhsa_float_round_mode_16_64 0
		.amdhsa_float_denorm_mode_32 3
		.amdhsa_float_denorm_mode_16_64 3
		.amdhsa_dx10_clamp 1
		.amdhsa_ieee_mode 1
		.amdhsa_fp16_overflow 0
		.amdhsa_exception_fp_ieee_invalid_op 0
		.amdhsa_exception_fp_denorm_src 0
		.amdhsa_exception_fp_ieee_div_zero 0
		.amdhsa_exception_fp_ieee_overflow 0
		.amdhsa_exception_fp_ieee_underflow 0
		.amdhsa_exception_fp_ieee_inexact 0
		.amdhsa_exception_int_div_zero 0
	.end_amdhsa_kernel
	.section	.text._ZN9rocsparseL19kernel_ptr_end_unitILj1024EllEEvT1_PKT0_PKS1_PS2_21rocsparse_index_base_,"axG",@progbits,_ZN9rocsparseL19kernel_ptr_end_unitILj1024EllEEvT1_PKT0_PKS1_PS2_21rocsparse_index_base_,comdat
.Lfunc_end14:
	.size	_ZN9rocsparseL19kernel_ptr_end_unitILj1024EllEEvT1_PKT0_PKS1_PS2_21rocsparse_index_base_, .Lfunc_end14-_ZN9rocsparseL19kernel_ptr_end_unitILj1024EllEEvT1_PKT0_PKS1_PS2_21rocsparse_index_base_
                                        ; -- End function
	.set _ZN9rocsparseL19kernel_ptr_end_unitILj1024EllEEvT1_PKT0_PKS1_PS2_21rocsparse_index_base_.num_vgpr, 14
	.set _ZN9rocsparseL19kernel_ptr_end_unitILj1024EllEEvT1_PKT0_PKS1_PS2_21rocsparse_index_base_.num_agpr, 0
	.set _ZN9rocsparseL19kernel_ptr_end_unitILj1024EllEEvT1_PKT0_PKS1_PS2_21rocsparse_index_base_.numbered_sgpr, 14
	.set _ZN9rocsparseL19kernel_ptr_end_unitILj1024EllEEvT1_PKT0_PKS1_PS2_21rocsparse_index_base_.num_named_barrier, 0
	.set _ZN9rocsparseL19kernel_ptr_end_unitILj1024EllEEvT1_PKT0_PKS1_PS2_21rocsparse_index_base_.private_seg_size, 0
	.set _ZN9rocsparseL19kernel_ptr_end_unitILj1024EllEEvT1_PKT0_PKS1_PS2_21rocsparse_index_base_.uses_vcc, 1
	.set _ZN9rocsparseL19kernel_ptr_end_unitILj1024EllEEvT1_PKT0_PKS1_PS2_21rocsparse_index_base_.uses_flat_scratch, 0
	.set _ZN9rocsparseL19kernel_ptr_end_unitILj1024EllEEvT1_PKT0_PKS1_PS2_21rocsparse_index_base_.has_dyn_sized_stack, 0
	.set _ZN9rocsparseL19kernel_ptr_end_unitILj1024EllEEvT1_PKT0_PKS1_PS2_21rocsparse_index_base_.has_recursion, 0
	.set _ZN9rocsparseL19kernel_ptr_end_unitILj1024EllEEvT1_PKT0_PKS1_PS2_21rocsparse_index_base_.has_indirect_call, 0
	.section	.AMDGPU.csdata,"",@progbits
; Kernel info:
; codeLenInByte = 364
; TotalNumSgprs: 18
; NumVgprs: 14
; ScratchSize: 0
; MemoryBound: 0
; FloatMode: 240
; IeeeMode: 1
; LDSByteSize: 0 bytes/workgroup (compile time only)
; SGPRBlocks: 2
; VGPRBlocks: 3
; NumSGPRsForWavesPerEU: 18
; NumVGPRsForWavesPerEU: 14
; Occupancy: 10
; WaveLimiterHint : 0
; COMPUTE_PGM_RSRC2:SCRATCH_EN: 0
; COMPUTE_PGM_RSRC2:USER_SGPR: 6
; COMPUTE_PGM_RSRC2:TRAP_HANDLER: 0
; COMPUTE_PGM_RSRC2:TGID_X_EN: 1
; COMPUTE_PGM_RSRC2:TGID_Y_EN: 0
; COMPUTE_PGM_RSRC2:TGID_Z_EN: 0
; COMPUTE_PGM_RSRC2:TIDIG_COMP_CNT: 0
	.section	.text._ZN9rocsparseL23kernel_ptr_end_non_unitILj1024EllEEvT1_PKT0_PKS1_PS2_21rocsparse_index_base_,"axG",@progbits,_ZN9rocsparseL23kernel_ptr_end_non_unitILj1024EllEEvT1_PKT0_PKS1_PS2_21rocsparse_index_base_,comdat
	.globl	_ZN9rocsparseL23kernel_ptr_end_non_unitILj1024EllEEvT1_PKT0_PKS1_PS2_21rocsparse_index_base_ ; -- Begin function _ZN9rocsparseL23kernel_ptr_end_non_unitILj1024EllEEvT1_PKT0_PKS1_PS2_21rocsparse_index_base_
	.p2align	8
	.type	_ZN9rocsparseL23kernel_ptr_end_non_unitILj1024EllEEvT1_PKT0_PKS1_PS2_21rocsparse_index_base_,@function
_ZN9rocsparseL23kernel_ptr_end_non_unitILj1024EllEEvT1_PKT0_PKS1_PS2_21rocsparse_index_base_: ; @_ZN9rocsparseL23kernel_ptr_end_non_unitILj1024EllEEvT1_PKT0_PKS1_PS2_21rocsparse_index_base_
; %bb.0:
	s_load_dwordx2 s[0:1], s[4:5], 0x0
	v_lshl_or_b32 v4, s6, 10, v0
	v_mov_b32_e32 v5, 0
	s_waitcnt lgkmcnt(0)
	v_cmp_gt_i64_e32 vcc, s[0:1], v[4:5]
	s_and_saveexec_b64 s[0:1], vcc
	s_cbranch_execz .LBB15_8
; %bb.1:
	s_load_dwordx2 s[0:1], s[4:5], 0x8
	s_load_dwordx2 s[2:3], s[4:5], 0x18
	v_add_u32_e32 v0, 1, v4
	v_mov_b32_e32 v1, v5
	v_lshlrev_b64 v[0:1], 3, v[0:1]
	s_waitcnt lgkmcnt(0)
	v_mov_b32_e32 v2, s1
	v_add_co_u32_e32 v0, vcc, s0, v0
	v_lshlrev_b64 v[5:6], 3, v[4:5]
	v_addc_co_u32_e32 v1, vcc, v2, v1, vcc
	v_add_co_u32_e32 v10, vcc, s0, v5
	v_addc_co_u32_e32 v11, vcc, v2, v6, vcc
	global_load_dwordx2 v[2:3], v[0:1], off
	global_load_dwordx2 v[8:9], v[10:11], off
	v_mov_b32_e32 v1, s3
	v_add_co_u32_e32 v0, vcc, s2, v5
	v_addc_co_u32_e32 v1, vcc, v1, v6, vcc
	s_waitcnt vmcnt(1)
	global_store_dwordx2 v[0:1], v[2:3], off
	s_waitcnt vmcnt(1)
	v_cmp_lt_i64_e32 vcc, v[8:9], v[2:3]
	s_and_b64 exec, exec, vcc
	s_cbranch_execz .LBB15_8
; %bb.2:
	s_load_dword s0, s[4:5], 0x20
	s_load_dwordx2 s[2:3], s[4:5], 0x10
	s_mov_b32 s1, 0
                                        ; implicit-def: $sgpr8_sgpr9
                                        ; implicit-def: $sgpr6_sgpr7
	s_waitcnt lgkmcnt(0)
	v_subrev_co_u32_e32 v2, vcc, s0, v2
	v_subbrev_co_u32_e32 v3, vcc, 0, v3, vcc
	v_add_co_u32_e32 v4, vcc, s0, v4
	v_addc_co_u32_e64 v5, s[4:5], 0, 0, vcc
	v_subrev_co_u32_e32 v6, vcc, s0, v8
	v_subbrev_co_u32_e32 v7, vcc, 0, v9, vcc
	v_lshlrev_b64 v[8:9], 3, v[8:9]
	s_lshl_b64 s[4:5], s[0:1], 3
	v_mov_b32_e32 v10, s5
	v_subrev_co_u32_e32 v8, vcc, s4, v8
	v_subb_co_u32_e32 v9, vcc, v9, v10, vcc
	v_mov_b32_e32 v10, s3
	v_add_co_u32_e32 v8, vcc, s2, v8
	v_addc_co_u32_e32 v9, vcc, v10, v9, vcc
	s_mov_b64 s[2:3], 0
                                        ; implicit-def: $sgpr4_sgpr5
	s_branch .LBB15_4
.LBB15_3:                               ;   in Loop: Header=BB15_4 Depth=1
	s_or_b64 exec, exec, s[10:11]
	s_and_b64 s[10:11], exec, s[8:9]
	s_or_b64 s[2:3], s[10:11], s[2:3]
	s_andn2_b64 s[4:5], s[4:5], exec
	s_and_b64 s[10:11], s[6:7], exec
	s_or_b64 s[4:5], s[4:5], s[10:11]
	s_andn2_b64 exec, exec, s[2:3]
	s_cbranch_execz .LBB15_6
.LBB15_4:                               ; =>This Inner Loop Header: Depth=1
	global_load_dwordx2 v[12:13], v[8:9], off
	v_mov_b32_e32 v11, v7
	v_mov_b32_e32 v10, v6
	s_or_b64 s[6:7], s[6:7], exec
	s_or_b64 s[8:9], s[8:9], exec
                                        ; implicit-def: $vgpr6_vgpr7
	s_waitcnt vmcnt(0)
	v_cmp_le_i64_e32 vcc, v[12:13], v[4:5]
	s_and_saveexec_b64 s[10:11], vcc
	s_cbranch_execz .LBB15_3
; %bb.5:                                ;   in Loop: Header=BB15_4 Depth=1
	v_add_co_u32_e32 v6, vcc, 1, v10
	v_addc_co_u32_e32 v7, vcc, 0, v11, vcc
	v_add_co_u32_e32 v8, vcc, 8, v8
	v_addc_co_u32_e32 v9, vcc, 0, v9, vcc
	v_cmp_ge_i64_e32 vcc, v[6:7], v[2:3]
	s_andn2_b64 s[8:9], s[8:9], exec
	s_and_b64 s[12:13], vcc, exec
	s_andn2_b64 s[6:7], s[6:7], exec
	s_or_b64 s[8:9], s[8:9], s[12:13]
	s_branch .LBB15_3
.LBB15_6:
	s_or_b64 exec, exec, s[2:3]
	s_and_saveexec_b64 s[2:3], s[4:5]
	s_xor_b64 s[2:3], exec, s[2:3]
	s_cbranch_execz .LBB15_8
; %bb.7:
	v_add_co_u32_e32 v2, vcc, s0, v10
	v_addc_co_u32_e32 v3, vcc, 0, v11, vcc
	global_store_dwordx2 v[0:1], v[2:3], off
.LBB15_8:
	s_endpgm
	.section	.rodata,"a",@progbits
	.p2align	6, 0x0
	.amdhsa_kernel _ZN9rocsparseL23kernel_ptr_end_non_unitILj1024EllEEvT1_PKT0_PKS1_PS2_21rocsparse_index_base_
		.amdhsa_group_segment_fixed_size 0
		.amdhsa_private_segment_fixed_size 0
		.amdhsa_kernarg_size 36
		.amdhsa_user_sgpr_count 6
		.amdhsa_user_sgpr_private_segment_buffer 1
		.amdhsa_user_sgpr_dispatch_ptr 0
		.amdhsa_user_sgpr_queue_ptr 0
		.amdhsa_user_sgpr_kernarg_segment_ptr 1
		.amdhsa_user_sgpr_dispatch_id 0
		.amdhsa_user_sgpr_flat_scratch_init 0
		.amdhsa_user_sgpr_private_segment_size 0
		.amdhsa_uses_dynamic_stack 0
		.amdhsa_system_sgpr_private_segment_wavefront_offset 0
		.amdhsa_system_sgpr_workgroup_id_x 1
		.amdhsa_system_sgpr_workgroup_id_y 0
		.amdhsa_system_sgpr_workgroup_id_z 0
		.amdhsa_system_sgpr_workgroup_info 0
		.amdhsa_system_vgpr_workitem_id 0
		.amdhsa_next_free_vgpr 14
		.amdhsa_next_free_sgpr 14
		.amdhsa_reserve_vcc 1
		.amdhsa_reserve_flat_scratch 0
		.amdhsa_float_round_mode_32 0
		.amdhsa_float_round_mode_16_64 0
		.amdhsa_float_denorm_mode_32 3
		.amdhsa_float_denorm_mode_16_64 3
		.amdhsa_dx10_clamp 1
		.amdhsa_ieee_mode 1
		.amdhsa_fp16_overflow 0
		.amdhsa_exception_fp_ieee_invalid_op 0
		.amdhsa_exception_fp_denorm_src 0
		.amdhsa_exception_fp_ieee_div_zero 0
		.amdhsa_exception_fp_ieee_overflow 0
		.amdhsa_exception_fp_ieee_underflow 0
		.amdhsa_exception_fp_ieee_inexact 0
		.amdhsa_exception_int_div_zero 0
	.end_amdhsa_kernel
	.section	.text._ZN9rocsparseL23kernel_ptr_end_non_unitILj1024EllEEvT1_PKT0_PKS1_PS2_21rocsparse_index_base_,"axG",@progbits,_ZN9rocsparseL23kernel_ptr_end_non_unitILj1024EllEEvT1_PKT0_PKS1_PS2_21rocsparse_index_base_,comdat
.Lfunc_end15:
	.size	_ZN9rocsparseL23kernel_ptr_end_non_unitILj1024EllEEvT1_PKT0_PKS1_PS2_21rocsparse_index_base_, .Lfunc_end15-_ZN9rocsparseL23kernel_ptr_end_non_unitILj1024EllEEvT1_PKT0_PKS1_PS2_21rocsparse_index_base_
                                        ; -- End function
	.set _ZN9rocsparseL23kernel_ptr_end_non_unitILj1024EllEEvT1_PKT0_PKS1_PS2_21rocsparse_index_base_.num_vgpr, 14
	.set _ZN9rocsparseL23kernel_ptr_end_non_unitILj1024EllEEvT1_PKT0_PKS1_PS2_21rocsparse_index_base_.num_agpr, 0
	.set _ZN9rocsparseL23kernel_ptr_end_non_unitILj1024EllEEvT1_PKT0_PKS1_PS2_21rocsparse_index_base_.numbered_sgpr, 14
	.set _ZN9rocsparseL23kernel_ptr_end_non_unitILj1024EllEEvT1_PKT0_PKS1_PS2_21rocsparse_index_base_.num_named_barrier, 0
	.set _ZN9rocsparseL23kernel_ptr_end_non_unitILj1024EllEEvT1_PKT0_PKS1_PS2_21rocsparse_index_base_.private_seg_size, 0
	.set _ZN9rocsparseL23kernel_ptr_end_non_unitILj1024EllEEvT1_PKT0_PKS1_PS2_21rocsparse_index_base_.uses_vcc, 1
	.set _ZN9rocsparseL23kernel_ptr_end_non_unitILj1024EllEEvT1_PKT0_PKS1_PS2_21rocsparse_index_base_.uses_flat_scratch, 0
	.set _ZN9rocsparseL23kernel_ptr_end_non_unitILj1024EllEEvT1_PKT0_PKS1_PS2_21rocsparse_index_base_.has_dyn_sized_stack, 0
	.set _ZN9rocsparseL23kernel_ptr_end_non_unitILj1024EllEEvT1_PKT0_PKS1_PS2_21rocsparse_index_base_.has_recursion, 0
	.set _ZN9rocsparseL23kernel_ptr_end_non_unitILj1024EllEEvT1_PKT0_PKS1_PS2_21rocsparse_index_base_.has_indirect_call, 0
	.section	.AMDGPU.csdata,"",@progbits
; Kernel info:
; codeLenInByte = 400
; TotalNumSgprs: 18
; NumVgprs: 14
; ScratchSize: 0
; MemoryBound: 0
; FloatMode: 240
; IeeeMode: 1
; LDSByteSize: 0 bytes/workgroup (compile time only)
; SGPRBlocks: 2
; VGPRBlocks: 3
; NumSGPRsForWavesPerEU: 18
; NumVGPRsForWavesPerEU: 14
; Occupancy: 10
; WaveLimiterHint : 0
; COMPUTE_PGM_RSRC2:SCRATCH_EN: 0
; COMPUTE_PGM_RSRC2:USER_SGPR: 6
; COMPUTE_PGM_RSRC2:TRAP_HANDLER: 0
; COMPUTE_PGM_RSRC2:TGID_X_EN: 1
; COMPUTE_PGM_RSRC2:TGID_Y_EN: 0
; COMPUTE_PGM_RSRC2:TGID_Z_EN: 0
; COMPUTE_PGM_RSRC2:TIDIG_COMP_CNT: 0
	.section	.text._ZN9rocsparseL29kernel_count_missing_diagonalILj1024EllEEvT1_PKT0_S1_PKS1_21rocsparse_index_base_PS1_Pi,"axG",@progbits,_ZN9rocsparseL29kernel_count_missing_diagonalILj1024EllEEvT1_PKT0_S1_PKS1_21rocsparse_index_base_PS1_Pi,comdat
	.globl	_ZN9rocsparseL29kernel_count_missing_diagonalILj1024EllEEvT1_PKT0_S1_PKS1_21rocsparse_index_base_PS1_Pi ; -- Begin function _ZN9rocsparseL29kernel_count_missing_diagonalILj1024EllEEvT1_PKT0_S1_PKS1_21rocsparse_index_base_PS1_Pi
	.p2align	8
	.type	_ZN9rocsparseL29kernel_count_missing_diagonalILj1024EllEEvT1_PKT0_S1_PKS1_21rocsparse_index_base_PS1_Pi,@function
_ZN9rocsparseL29kernel_count_missing_diagonalILj1024EllEEvT1_PKT0_S1_PKS1_21rocsparse_index_base_PS1_Pi: ; @_ZN9rocsparseL29kernel_count_missing_diagonalILj1024EllEEvT1_PKT0_S1_PKS1_21rocsparse_index_base_PS1_Pi
; %bb.0:
	s_load_dwordx2 s[0:1], s[4:5], 0x0
	v_lshl_or_b32 v0, s6, 10, v0
	v_mov_b32_e32 v1, 0
	s_waitcnt lgkmcnt(0)
	v_cmp_gt_i64_e32 vcc, s[0:1], v[0:1]
	s_and_saveexec_b64 s[0:1], vcc
	s_cbranch_execz .LBB16_8
; %bb.1:
	s_load_dwordx4 s[0:3], s[4:5], 0x8
	s_load_dwordx2 s[6:7], s[4:5], 0x18
	v_lshlrev_b64 v[2:3], 3, v[0:1]
	s_load_dword s8, s[4:5], 0x20
	s_waitcnt lgkmcnt(0)
	v_mov_b32_e32 v4, s1
	v_add_co_u32_e32 v2, vcc, s0, v2
	v_addc_co_u32_e32 v3, vcc, v4, v3, vcc
	global_load_dwordx2 v[2:3], v[2:3], off
	v_mov_b32_e32 v4, s7
	s_lshl_b64 s[0:1], s[2:3], 3
	v_mov_b32_e32 v5, s1
	s_waitcnt vmcnt(0)
	v_subrev_co_u32_e32 v2, vcc, s8, v2
	v_subbrev_co_u32_e32 v3, vcc, 0, v3, vcc
	v_lshlrev_b64 v[2:3], 3, v[2:3]
	v_add_co_u32_e32 v2, vcc, s6, v2
	v_addc_co_u32_e32 v3, vcc, v4, v3, vcc
	v_add_co_u32_e32 v2, vcc, s0, v2
	v_addc_co_u32_e32 v3, vcc, v3, v5, vcc
	global_load_dwordx2 v[2:3], v[2:3], off
	s_waitcnt vmcnt(0)
	v_subrev_co_u32_e32 v2, vcc, s8, v2
	v_subbrev_co_u32_e32 v3, vcc, 0, v3, vcc
	v_cmp_ne_u64_e32 vcc, v[2:3], v[0:1]
	s_and_b64 exec, exec, vcc
	s_cbranch_execz .LBB16_8
; %bb.2:
	s_load_dwordx4 s[0:3], s[4:5], 0x28
	s_mov_b64 s[6:7], exec
	v_add_u32_e32 v0, s8, v0
	s_brev_b32 s8, -2
.LBB16_3:                               ; =>This Inner Loop Header: Depth=1
	s_ff1_i32_b64 s4, s[6:7]
	v_readlane_b32 s9, v0, s4
	s_lshl_b64 s[4:5], 1, s4
	s_min_i32 s8, s8, s9
	s_andn2_b64 s[6:7], s[6:7], s[4:5]
	s_cmp_lg_u64 s[6:7], 0
	s_cbranch_scc1 .LBB16_3
; %bb.4:
	v_mbcnt_lo_u32_b32 v0, exec_lo, 0
	v_mbcnt_hi_u32_b32 v0, exec_hi, v0
	v_cmp_eq_u32_e32 vcc, 0, v0
	s_and_saveexec_b64 s[4:5], vcc
	s_xor_b64 s[4:5], exec, s[4:5]
	s_cbranch_execz .LBB16_6
; %bb.5:
	v_mov_b32_e32 v0, 0
	v_mov_b32_e32 v1, s8
	s_waitcnt lgkmcnt(0)
	global_atomic_smin v0, v1, s[2:3]
.LBB16_6:
	s_or_b64 exec, exec, s[4:5]
	s_waitcnt lgkmcnt(0)
	s_mov_b64 s[2:3], exec
	v_mbcnt_lo_u32_b32 v0, s2, 0
	v_mbcnt_hi_u32_b32 v0, s3, v0
	v_cmp_eq_u32_e32 vcc, 0, v0
	s_and_b64 s[4:5], exec, vcc
	s_mov_b64 exec, s[4:5]
	s_cbranch_execz .LBB16_8
; %bb.7:
	s_bcnt1_i32_b64 s2, s[2:3]
	v_mov_b32_e32 v0, s2
	v_mov_b32_e32 v1, 0
	global_atomic_add_x2 v1, v[0:1], s[0:1]
.LBB16_8:
	s_endpgm
	.section	.rodata,"a",@progbits
	.p2align	6, 0x0
	.amdhsa_kernel _ZN9rocsparseL29kernel_count_missing_diagonalILj1024EllEEvT1_PKT0_S1_PKS1_21rocsparse_index_base_PS1_Pi
		.amdhsa_group_segment_fixed_size 0
		.amdhsa_private_segment_fixed_size 0
		.amdhsa_kernarg_size 56
		.amdhsa_user_sgpr_count 6
		.amdhsa_user_sgpr_private_segment_buffer 1
		.amdhsa_user_sgpr_dispatch_ptr 0
		.amdhsa_user_sgpr_queue_ptr 0
		.amdhsa_user_sgpr_kernarg_segment_ptr 1
		.amdhsa_user_sgpr_dispatch_id 0
		.amdhsa_user_sgpr_flat_scratch_init 0
		.amdhsa_user_sgpr_private_segment_size 0
		.amdhsa_uses_dynamic_stack 0
		.amdhsa_system_sgpr_private_segment_wavefront_offset 0
		.amdhsa_system_sgpr_workgroup_id_x 1
		.amdhsa_system_sgpr_workgroup_id_y 0
		.amdhsa_system_sgpr_workgroup_id_z 0
		.amdhsa_system_sgpr_workgroup_info 0
		.amdhsa_system_vgpr_workitem_id 0
		.amdhsa_next_free_vgpr 6
		.amdhsa_next_free_sgpr 10
		.amdhsa_reserve_vcc 1
		.amdhsa_reserve_flat_scratch 0
		.amdhsa_float_round_mode_32 0
		.amdhsa_float_round_mode_16_64 0
		.amdhsa_float_denorm_mode_32 3
		.amdhsa_float_denorm_mode_16_64 3
		.amdhsa_dx10_clamp 1
		.amdhsa_ieee_mode 1
		.amdhsa_fp16_overflow 0
		.amdhsa_exception_fp_ieee_invalid_op 0
		.amdhsa_exception_fp_denorm_src 0
		.amdhsa_exception_fp_ieee_div_zero 0
		.amdhsa_exception_fp_ieee_overflow 0
		.amdhsa_exception_fp_ieee_underflow 0
		.amdhsa_exception_fp_ieee_inexact 0
		.amdhsa_exception_int_div_zero 0
	.end_amdhsa_kernel
	.section	.text._ZN9rocsparseL29kernel_count_missing_diagonalILj1024EllEEvT1_PKT0_S1_PKS1_21rocsparse_index_base_PS1_Pi,"axG",@progbits,_ZN9rocsparseL29kernel_count_missing_diagonalILj1024EllEEvT1_PKT0_S1_PKS1_21rocsparse_index_base_PS1_Pi,comdat
.Lfunc_end16:
	.size	_ZN9rocsparseL29kernel_count_missing_diagonalILj1024EllEEvT1_PKT0_S1_PKS1_21rocsparse_index_base_PS1_Pi, .Lfunc_end16-_ZN9rocsparseL29kernel_count_missing_diagonalILj1024EllEEvT1_PKT0_S1_PKS1_21rocsparse_index_base_PS1_Pi
                                        ; -- End function
	.set _ZN9rocsparseL29kernel_count_missing_diagonalILj1024EllEEvT1_PKT0_S1_PKS1_21rocsparse_index_base_PS1_Pi.num_vgpr, 6
	.set _ZN9rocsparseL29kernel_count_missing_diagonalILj1024EllEEvT1_PKT0_S1_PKS1_21rocsparse_index_base_PS1_Pi.num_agpr, 0
	.set _ZN9rocsparseL29kernel_count_missing_diagonalILj1024EllEEvT1_PKT0_S1_PKS1_21rocsparse_index_base_PS1_Pi.numbered_sgpr, 10
	.set _ZN9rocsparseL29kernel_count_missing_diagonalILj1024EllEEvT1_PKT0_S1_PKS1_21rocsparse_index_base_PS1_Pi.num_named_barrier, 0
	.set _ZN9rocsparseL29kernel_count_missing_diagonalILj1024EllEEvT1_PKT0_S1_PKS1_21rocsparse_index_base_PS1_Pi.private_seg_size, 0
	.set _ZN9rocsparseL29kernel_count_missing_diagonalILj1024EllEEvT1_PKT0_S1_PKS1_21rocsparse_index_base_PS1_Pi.uses_vcc, 1
	.set _ZN9rocsparseL29kernel_count_missing_diagonalILj1024EllEEvT1_PKT0_S1_PKS1_21rocsparse_index_base_PS1_Pi.uses_flat_scratch, 0
	.set _ZN9rocsparseL29kernel_count_missing_diagonalILj1024EllEEvT1_PKT0_S1_PKS1_21rocsparse_index_base_PS1_Pi.has_dyn_sized_stack, 0
	.set _ZN9rocsparseL29kernel_count_missing_diagonalILj1024EllEEvT1_PKT0_S1_PKS1_21rocsparse_index_base_PS1_Pi.has_recursion, 0
	.set _ZN9rocsparseL29kernel_count_missing_diagonalILj1024EllEEvT1_PKT0_S1_PKS1_21rocsparse_index_base_PS1_Pi.has_indirect_call, 0
	.section	.AMDGPU.csdata,"",@progbits
; Kernel info:
; codeLenInByte = 344
; TotalNumSgprs: 14
; NumVgprs: 6
; ScratchSize: 0
; MemoryBound: 0
; FloatMode: 240
; IeeeMode: 1
; LDSByteSize: 0 bytes/workgroup (compile time only)
; SGPRBlocks: 1
; VGPRBlocks: 1
; NumSGPRsForWavesPerEU: 14
; NumVGPRsForWavesPerEU: 6
; Occupancy: 10
; WaveLimiterHint : 1
; COMPUTE_PGM_RSRC2:SCRATCH_EN: 0
; COMPUTE_PGM_RSRC2:USER_SGPR: 6
; COMPUTE_PGM_RSRC2:TRAP_HANDLER: 0
; COMPUTE_PGM_RSRC2:TGID_X_EN: 1
; COMPUTE_PGM_RSRC2:TGID_Y_EN: 0
; COMPUTE_PGM_RSRC2:TGID_Z_EN: 0
; COMPUTE_PGM_RSRC2:TIDIG_COMP_CNT: 0
	.section	.text._ZN9rocsparseL30kernel_count_missing_diagonal2IL20rocsparse_fill_mode_0ELj1024EllEEvT2_PKT1_PKS2_21rocsparse_index_base_PS2_Pi,"axG",@progbits,_ZN9rocsparseL30kernel_count_missing_diagonal2IL20rocsparse_fill_mode_0ELj1024EllEEvT2_PKT1_PKS2_21rocsparse_index_base_PS2_Pi,comdat
	.globl	_ZN9rocsparseL30kernel_count_missing_diagonal2IL20rocsparse_fill_mode_0ELj1024EllEEvT2_PKT1_PKS2_21rocsparse_index_base_PS2_Pi ; -- Begin function _ZN9rocsparseL30kernel_count_missing_diagonal2IL20rocsparse_fill_mode_0ELj1024EllEEvT2_PKT1_PKS2_21rocsparse_index_base_PS2_Pi
	.p2align	8
	.type	_ZN9rocsparseL30kernel_count_missing_diagonal2IL20rocsparse_fill_mode_0ELj1024EllEEvT2_PKT1_PKS2_21rocsparse_index_base_PS2_Pi,@function
_ZN9rocsparseL30kernel_count_missing_diagonal2IL20rocsparse_fill_mode_0ELj1024EllEEvT2_PKT1_PKS2_21rocsparse_index_base_PS2_Pi: ; @_ZN9rocsparseL30kernel_count_missing_diagonal2IL20rocsparse_fill_mode_0ELj1024EllEEvT2_PKT1_PKS2_21rocsparse_index_base_PS2_Pi
; %bb.0:
	s_load_dwordx2 s[0:1], s[4:5], 0x0
	v_lshl_or_b32 v0, s6, 10, v0
	v_mov_b32_e32 v1, 0
	s_waitcnt lgkmcnt(0)
	v_cmp_gt_i64_e32 vcc, s[0:1], v[0:1]
	s_and_saveexec_b64 s[0:1], vcc
	s_cbranch_execz .LBB17_8
; %bb.1:
	s_load_dwordx4 s[0:3], s[4:5], 0x8
	s_load_dword s6, s[4:5], 0x18
	v_lshlrev_b64 v[2:3], 3, v[0:1]
	s_mov_b32 s7, 0
	s_waitcnt lgkmcnt(0)
	v_mov_b32_e32 v4, s1
	v_add_co_u32_e32 v2, vcc, s0, v2
	v_addc_co_u32_e32 v3, vcc, v4, v3, vcc
	global_load_dwordx2 v[2:3], v[2:3], off offset:8
	s_not_b64 s[0:1], s[6:7]
	v_mov_b32_e32 v4, s3
	s_lshl_b64 s[0:1], s[0:1], 3
	v_mov_b32_e32 v5, s1
	s_waitcnt vmcnt(0)
	v_lshlrev_b64 v[2:3], 3, v[2:3]
	v_add_co_u32_e32 v2, vcc, s2, v2
	v_addc_co_u32_e32 v3, vcc, v4, v3, vcc
	v_add_co_u32_e32 v2, vcc, s0, v2
	v_addc_co_u32_e32 v3, vcc, v3, v5, vcc
	global_load_dwordx2 v[2:3], v[2:3], off
	s_waitcnt vmcnt(0)
	v_subrev_co_u32_e32 v2, vcc, s6, v2
	v_subbrev_co_u32_e32 v3, vcc, 0, v3, vcc
	v_cmp_ne_u64_e32 vcc, v[2:3], v[0:1]
	s_and_b64 exec, exec, vcc
	s_cbranch_execz .LBB17_8
; %bb.2:
	s_load_dwordx4 s[0:3], s[4:5], 0x20
	s_mov_b64 s[8:9], exec
	v_add_u32_e32 v0, s6, v0
	s_brev_b32 s6, -2
.LBB17_3:                               ; =>This Inner Loop Header: Depth=1
	s_ff1_i32_b64 s4, s[8:9]
	v_readlane_b32 s7, v0, s4
	s_lshl_b64 s[4:5], 1, s4
	s_min_i32 s6, s6, s7
	s_andn2_b64 s[8:9], s[8:9], s[4:5]
	s_cmp_lg_u64 s[8:9], 0
	s_cbranch_scc1 .LBB17_3
; %bb.4:
	v_mbcnt_lo_u32_b32 v0, exec_lo, 0
	v_mbcnt_hi_u32_b32 v0, exec_hi, v0
	v_cmp_eq_u32_e32 vcc, 0, v0
	s_and_saveexec_b64 s[4:5], vcc
	s_xor_b64 s[4:5], exec, s[4:5]
	s_cbranch_execz .LBB17_6
; %bb.5:
	v_mov_b32_e32 v0, 0
	v_mov_b32_e32 v1, s6
	s_waitcnt lgkmcnt(0)
	global_atomic_smin v0, v1, s[2:3]
.LBB17_6:
	s_or_b64 exec, exec, s[4:5]
	s_waitcnt lgkmcnt(0)
	s_mov_b64 s[2:3], exec
	v_mbcnt_lo_u32_b32 v0, s2, 0
	v_mbcnt_hi_u32_b32 v0, s3, v0
	v_cmp_eq_u32_e32 vcc, 0, v0
	s_and_b64 s[4:5], exec, vcc
	s_mov_b64 exec, s[4:5]
	s_cbranch_execz .LBB17_8
; %bb.7:
	s_bcnt1_i32_b64 s2, s[2:3]
	v_mov_b32_e32 v0, s2
	v_mov_b32_e32 v1, 0
	global_atomic_add_x2 v1, v[0:1], s[0:1]
.LBB17_8:
	s_endpgm
	.section	.rodata,"a",@progbits
	.p2align	6, 0x0
	.amdhsa_kernel _ZN9rocsparseL30kernel_count_missing_diagonal2IL20rocsparse_fill_mode_0ELj1024EllEEvT2_PKT1_PKS2_21rocsparse_index_base_PS2_Pi
		.amdhsa_group_segment_fixed_size 0
		.amdhsa_private_segment_fixed_size 0
		.amdhsa_kernarg_size 48
		.amdhsa_user_sgpr_count 6
		.amdhsa_user_sgpr_private_segment_buffer 1
		.amdhsa_user_sgpr_dispatch_ptr 0
		.amdhsa_user_sgpr_queue_ptr 0
		.amdhsa_user_sgpr_kernarg_segment_ptr 1
		.amdhsa_user_sgpr_dispatch_id 0
		.amdhsa_user_sgpr_flat_scratch_init 0
		.amdhsa_user_sgpr_private_segment_size 0
		.amdhsa_uses_dynamic_stack 0
		.amdhsa_system_sgpr_private_segment_wavefront_offset 0
		.amdhsa_system_sgpr_workgroup_id_x 1
		.amdhsa_system_sgpr_workgroup_id_y 0
		.amdhsa_system_sgpr_workgroup_id_z 0
		.amdhsa_system_sgpr_workgroup_info 0
		.amdhsa_system_vgpr_workitem_id 0
		.amdhsa_next_free_vgpr 6
		.amdhsa_next_free_sgpr 10
		.amdhsa_reserve_vcc 1
		.amdhsa_reserve_flat_scratch 0
		.amdhsa_float_round_mode_32 0
		.amdhsa_float_round_mode_16_64 0
		.amdhsa_float_denorm_mode_32 3
		.amdhsa_float_denorm_mode_16_64 3
		.amdhsa_dx10_clamp 1
		.amdhsa_ieee_mode 1
		.amdhsa_fp16_overflow 0
		.amdhsa_exception_fp_ieee_invalid_op 0
		.amdhsa_exception_fp_denorm_src 0
		.amdhsa_exception_fp_ieee_div_zero 0
		.amdhsa_exception_fp_ieee_overflow 0
		.amdhsa_exception_fp_ieee_underflow 0
		.amdhsa_exception_fp_ieee_inexact 0
		.amdhsa_exception_int_div_zero 0
	.end_amdhsa_kernel
	.section	.text._ZN9rocsparseL30kernel_count_missing_diagonal2IL20rocsparse_fill_mode_0ELj1024EllEEvT2_PKT1_PKS2_21rocsparse_index_base_PS2_Pi,"axG",@progbits,_ZN9rocsparseL30kernel_count_missing_diagonal2IL20rocsparse_fill_mode_0ELj1024EllEEvT2_PKT1_PKS2_21rocsparse_index_base_PS2_Pi,comdat
.Lfunc_end17:
	.size	_ZN9rocsparseL30kernel_count_missing_diagonal2IL20rocsparse_fill_mode_0ELj1024EllEEvT2_PKT1_PKS2_21rocsparse_index_base_PS2_Pi, .Lfunc_end17-_ZN9rocsparseL30kernel_count_missing_diagonal2IL20rocsparse_fill_mode_0ELj1024EllEEvT2_PKT1_PKS2_21rocsparse_index_base_PS2_Pi
                                        ; -- End function
	.set _ZN9rocsparseL30kernel_count_missing_diagonal2IL20rocsparse_fill_mode_0ELj1024EllEEvT2_PKT1_PKS2_21rocsparse_index_base_PS2_Pi.num_vgpr, 6
	.set _ZN9rocsparseL30kernel_count_missing_diagonal2IL20rocsparse_fill_mode_0ELj1024EllEEvT2_PKT1_PKS2_21rocsparse_index_base_PS2_Pi.num_agpr, 0
	.set _ZN9rocsparseL30kernel_count_missing_diagonal2IL20rocsparse_fill_mode_0ELj1024EllEEvT2_PKT1_PKS2_21rocsparse_index_base_PS2_Pi.numbered_sgpr, 10
	.set _ZN9rocsparseL30kernel_count_missing_diagonal2IL20rocsparse_fill_mode_0ELj1024EllEEvT2_PKT1_PKS2_21rocsparse_index_base_PS2_Pi.num_named_barrier, 0
	.set _ZN9rocsparseL30kernel_count_missing_diagonal2IL20rocsparse_fill_mode_0ELj1024EllEEvT2_PKT1_PKS2_21rocsparse_index_base_PS2_Pi.private_seg_size, 0
	.set _ZN9rocsparseL30kernel_count_missing_diagonal2IL20rocsparse_fill_mode_0ELj1024EllEEvT2_PKT1_PKS2_21rocsparse_index_base_PS2_Pi.uses_vcc, 1
	.set _ZN9rocsparseL30kernel_count_missing_diagonal2IL20rocsparse_fill_mode_0ELj1024EllEEvT2_PKT1_PKS2_21rocsparse_index_base_PS2_Pi.uses_flat_scratch, 0
	.set _ZN9rocsparseL30kernel_count_missing_diagonal2IL20rocsparse_fill_mode_0ELj1024EllEEvT2_PKT1_PKS2_21rocsparse_index_base_PS2_Pi.has_dyn_sized_stack, 0
	.set _ZN9rocsparseL30kernel_count_missing_diagonal2IL20rocsparse_fill_mode_0ELj1024EllEEvT2_PKT1_PKS2_21rocsparse_index_base_PS2_Pi.has_recursion, 0
	.set _ZN9rocsparseL30kernel_count_missing_diagonal2IL20rocsparse_fill_mode_0ELj1024EllEEvT2_PKT1_PKS2_21rocsparse_index_base_PS2_Pi.has_indirect_call, 0
	.section	.AMDGPU.csdata,"",@progbits
; Kernel info:
; codeLenInByte = 336
; TotalNumSgprs: 14
; NumVgprs: 6
; ScratchSize: 0
; MemoryBound: 0
; FloatMode: 240
; IeeeMode: 1
; LDSByteSize: 0 bytes/workgroup (compile time only)
; SGPRBlocks: 1
; VGPRBlocks: 1
; NumSGPRsForWavesPerEU: 14
; NumVGPRsForWavesPerEU: 6
; Occupancy: 10
; WaveLimiterHint : 1
; COMPUTE_PGM_RSRC2:SCRATCH_EN: 0
; COMPUTE_PGM_RSRC2:USER_SGPR: 6
; COMPUTE_PGM_RSRC2:TRAP_HANDLER: 0
; COMPUTE_PGM_RSRC2:TGID_X_EN: 1
; COMPUTE_PGM_RSRC2:TGID_Y_EN: 0
; COMPUTE_PGM_RSRC2:TGID_Z_EN: 0
; COMPUTE_PGM_RSRC2:TIDIG_COMP_CNT: 0
	.section	.text._ZN9rocsparseL30kernel_count_missing_diagonal2IL20rocsparse_fill_mode_1ELj1024EllEEvT2_PKT1_PKS2_21rocsparse_index_base_PS2_Pi,"axG",@progbits,_ZN9rocsparseL30kernel_count_missing_diagonal2IL20rocsparse_fill_mode_1ELj1024EllEEvT2_PKT1_PKS2_21rocsparse_index_base_PS2_Pi,comdat
	.globl	_ZN9rocsparseL30kernel_count_missing_diagonal2IL20rocsparse_fill_mode_1ELj1024EllEEvT2_PKT1_PKS2_21rocsparse_index_base_PS2_Pi ; -- Begin function _ZN9rocsparseL30kernel_count_missing_diagonal2IL20rocsparse_fill_mode_1ELj1024EllEEvT2_PKT1_PKS2_21rocsparse_index_base_PS2_Pi
	.p2align	8
	.type	_ZN9rocsparseL30kernel_count_missing_diagonal2IL20rocsparse_fill_mode_1ELj1024EllEEvT2_PKT1_PKS2_21rocsparse_index_base_PS2_Pi,@function
_ZN9rocsparseL30kernel_count_missing_diagonal2IL20rocsparse_fill_mode_1ELj1024EllEEvT2_PKT1_PKS2_21rocsparse_index_base_PS2_Pi: ; @_ZN9rocsparseL30kernel_count_missing_diagonal2IL20rocsparse_fill_mode_1ELj1024EllEEvT2_PKT1_PKS2_21rocsparse_index_base_PS2_Pi
; %bb.0:
	s_load_dwordx2 s[0:1], s[4:5], 0x0
	v_lshl_or_b32 v0, s6, 10, v0
	v_mov_b32_e32 v1, 0
	s_waitcnt lgkmcnt(0)
	v_cmp_gt_i64_e32 vcc, s[0:1], v[0:1]
	s_and_saveexec_b64 s[0:1], vcc
	s_cbranch_execz .LBB18_8
; %bb.1:
	s_load_dwordx4 s[0:3], s[4:5], 0x8
	s_load_dword s8, s[4:5], 0x18
	v_lshlrev_b64 v[2:3], 3, v[0:1]
	s_waitcnt lgkmcnt(0)
	v_mov_b32_e32 v4, s1
	v_add_co_u32_e32 v2, vcc, s0, v2
	v_addc_co_u32_e32 v3, vcc, v4, v3, vcc
	global_load_dwordx2 v[2:3], v[2:3], off
	v_mov_b32_e32 v4, s3
	s_waitcnt vmcnt(0)
	v_subrev_co_u32_e32 v2, vcc, s8, v2
	v_subbrev_co_u32_e32 v3, vcc, 0, v3, vcc
	v_lshlrev_b64 v[2:3], 3, v[2:3]
	v_add_co_u32_e32 v2, vcc, s2, v2
	v_addc_co_u32_e32 v3, vcc, v4, v3, vcc
	global_load_dwordx2 v[2:3], v[2:3], off
	s_waitcnt vmcnt(0)
	v_subrev_co_u32_e32 v2, vcc, s8, v2
	v_subbrev_co_u32_e32 v3, vcc, 0, v3, vcc
	v_cmp_ne_u64_e32 vcc, v[2:3], v[0:1]
	s_and_b64 exec, exec, vcc
	s_cbranch_execz .LBB18_8
; %bb.2:
	s_load_dwordx4 s[0:3], s[4:5], 0x20
	s_mov_b64 s[6:7], exec
	v_add_u32_e32 v0, s8, v0
	s_brev_b32 s8, -2
.LBB18_3:                               ; =>This Inner Loop Header: Depth=1
	s_ff1_i32_b64 s4, s[6:7]
	v_readlane_b32 s9, v0, s4
	s_lshl_b64 s[4:5], 1, s4
	s_min_i32 s8, s8, s9
	s_andn2_b64 s[6:7], s[6:7], s[4:5]
	s_cmp_lg_u64 s[6:7], 0
	s_cbranch_scc1 .LBB18_3
; %bb.4:
	v_mbcnt_lo_u32_b32 v0, exec_lo, 0
	v_mbcnt_hi_u32_b32 v0, exec_hi, v0
	v_cmp_eq_u32_e32 vcc, 0, v0
	s_and_saveexec_b64 s[4:5], vcc
	s_xor_b64 s[4:5], exec, s[4:5]
	s_cbranch_execz .LBB18_6
; %bb.5:
	v_mov_b32_e32 v0, 0
	v_mov_b32_e32 v1, s8
	s_waitcnt lgkmcnt(0)
	global_atomic_smin v0, v1, s[2:3]
.LBB18_6:
	s_or_b64 exec, exec, s[4:5]
	s_waitcnt lgkmcnt(0)
	s_mov_b64 s[2:3], exec
	v_mbcnt_lo_u32_b32 v0, s2, 0
	v_mbcnt_hi_u32_b32 v0, s3, v0
	v_cmp_eq_u32_e32 vcc, 0, v0
	s_and_b64 s[4:5], exec, vcc
	s_mov_b64 exec, s[4:5]
	s_cbranch_execz .LBB18_8
; %bb.7:
	s_bcnt1_i32_b64 s2, s[2:3]
	v_mov_b32_e32 v0, s2
	v_mov_b32_e32 v1, 0
	global_atomic_add_x2 v1, v[0:1], s[0:1]
.LBB18_8:
	s_endpgm
	.section	.rodata,"a",@progbits
	.p2align	6, 0x0
	.amdhsa_kernel _ZN9rocsparseL30kernel_count_missing_diagonal2IL20rocsparse_fill_mode_1ELj1024EllEEvT2_PKT1_PKS2_21rocsparse_index_base_PS2_Pi
		.amdhsa_group_segment_fixed_size 0
		.amdhsa_private_segment_fixed_size 0
		.amdhsa_kernarg_size 48
		.amdhsa_user_sgpr_count 6
		.amdhsa_user_sgpr_private_segment_buffer 1
		.amdhsa_user_sgpr_dispatch_ptr 0
		.amdhsa_user_sgpr_queue_ptr 0
		.amdhsa_user_sgpr_kernarg_segment_ptr 1
		.amdhsa_user_sgpr_dispatch_id 0
		.amdhsa_user_sgpr_flat_scratch_init 0
		.amdhsa_user_sgpr_private_segment_size 0
		.amdhsa_uses_dynamic_stack 0
		.amdhsa_system_sgpr_private_segment_wavefront_offset 0
		.amdhsa_system_sgpr_workgroup_id_x 1
		.amdhsa_system_sgpr_workgroup_id_y 0
		.amdhsa_system_sgpr_workgroup_id_z 0
		.amdhsa_system_sgpr_workgroup_info 0
		.amdhsa_system_vgpr_workitem_id 0
		.amdhsa_next_free_vgpr 5
		.amdhsa_next_free_sgpr 10
		.amdhsa_reserve_vcc 1
		.amdhsa_reserve_flat_scratch 0
		.amdhsa_float_round_mode_32 0
		.amdhsa_float_round_mode_16_64 0
		.amdhsa_float_denorm_mode_32 3
		.amdhsa_float_denorm_mode_16_64 3
		.amdhsa_dx10_clamp 1
		.amdhsa_ieee_mode 1
		.amdhsa_fp16_overflow 0
		.amdhsa_exception_fp_ieee_invalid_op 0
		.amdhsa_exception_fp_denorm_src 0
		.amdhsa_exception_fp_ieee_div_zero 0
		.amdhsa_exception_fp_ieee_overflow 0
		.amdhsa_exception_fp_ieee_underflow 0
		.amdhsa_exception_fp_ieee_inexact 0
		.amdhsa_exception_int_div_zero 0
	.end_amdhsa_kernel
	.section	.text._ZN9rocsparseL30kernel_count_missing_diagonal2IL20rocsparse_fill_mode_1ELj1024EllEEvT2_PKT1_PKS2_21rocsparse_index_base_PS2_Pi,"axG",@progbits,_ZN9rocsparseL30kernel_count_missing_diagonal2IL20rocsparse_fill_mode_1ELj1024EllEEvT2_PKT1_PKS2_21rocsparse_index_base_PS2_Pi,comdat
.Lfunc_end18:
	.size	_ZN9rocsparseL30kernel_count_missing_diagonal2IL20rocsparse_fill_mode_1ELj1024EllEEvT2_PKT1_PKS2_21rocsparse_index_base_PS2_Pi, .Lfunc_end18-_ZN9rocsparseL30kernel_count_missing_diagonal2IL20rocsparse_fill_mode_1ELj1024EllEEvT2_PKT1_PKS2_21rocsparse_index_base_PS2_Pi
                                        ; -- End function
	.set _ZN9rocsparseL30kernel_count_missing_diagonal2IL20rocsparse_fill_mode_1ELj1024EllEEvT2_PKT1_PKS2_21rocsparse_index_base_PS2_Pi.num_vgpr, 5
	.set _ZN9rocsparseL30kernel_count_missing_diagonal2IL20rocsparse_fill_mode_1ELj1024EllEEvT2_PKT1_PKS2_21rocsparse_index_base_PS2_Pi.num_agpr, 0
	.set _ZN9rocsparseL30kernel_count_missing_diagonal2IL20rocsparse_fill_mode_1ELj1024EllEEvT2_PKT1_PKS2_21rocsparse_index_base_PS2_Pi.numbered_sgpr, 10
	.set _ZN9rocsparseL30kernel_count_missing_diagonal2IL20rocsparse_fill_mode_1ELj1024EllEEvT2_PKT1_PKS2_21rocsparse_index_base_PS2_Pi.num_named_barrier, 0
	.set _ZN9rocsparseL30kernel_count_missing_diagonal2IL20rocsparse_fill_mode_1ELj1024EllEEvT2_PKT1_PKS2_21rocsparse_index_base_PS2_Pi.private_seg_size, 0
	.set _ZN9rocsparseL30kernel_count_missing_diagonal2IL20rocsparse_fill_mode_1ELj1024EllEEvT2_PKT1_PKS2_21rocsparse_index_base_PS2_Pi.uses_vcc, 1
	.set _ZN9rocsparseL30kernel_count_missing_diagonal2IL20rocsparse_fill_mode_1ELj1024EllEEvT2_PKT1_PKS2_21rocsparse_index_base_PS2_Pi.uses_flat_scratch, 0
	.set _ZN9rocsparseL30kernel_count_missing_diagonal2IL20rocsparse_fill_mode_1ELj1024EllEEvT2_PKT1_PKS2_21rocsparse_index_base_PS2_Pi.has_dyn_sized_stack, 0
	.set _ZN9rocsparseL30kernel_count_missing_diagonal2IL20rocsparse_fill_mode_1ELj1024EllEEvT2_PKT1_PKS2_21rocsparse_index_base_PS2_Pi.has_recursion, 0
	.set _ZN9rocsparseL30kernel_count_missing_diagonal2IL20rocsparse_fill_mode_1ELj1024EllEEvT2_PKT1_PKS2_21rocsparse_index_base_PS2_Pi.has_indirect_call, 0
	.section	.AMDGPU.csdata,"",@progbits
; Kernel info:
; codeLenInByte = 320
; TotalNumSgprs: 14
; NumVgprs: 5
; ScratchSize: 0
; MemoryBound: 0
; FloatMode: 240
; IeeeMode: 1
; LDSByteSize: 0 bytes/workgroup (compile time only)
; SGPRBlocks: 1
; VGPRBlocks: 1
; NumSGPRsForWavesPerEU: 14
; NumVGPRsForWavesPerEU: 5
; Occupancy: 10
; WaveLimiterHint : 1
; COMPUTE_PGM_RSRC2:SCRATCH_EN: 0
; COMPUTE_PGM_RSRC2:USER_SGPR: 6
; COMPUTE_PGM_RSRC2:TRAP_HANDLER: 0
; COMPUTE_PGM_RSRC2:TGID_X_EN: 1
; COMPUTE_PGM_RSRC2:TGID_Y_EN: 0
; COMPUTE_PGM_RSRC2:TGID_Z_EN: 0
; COMPUTE_PGM_RSRC2:TIDIG_COMP_CNT: 0
	.section	.text._ZN9rocsparseL32kernel_count_diagonal_triangularIL20rocsparse_fill_mode_0ELj1024EllEEvT2_PKT1_PKS2_21rocsparse_index_base_PS2_,"axG",@progbits,_ZN9rocsparseL32kernel_count_diagonal_triangularIL20rocsparse_fill_mode_0ELj1024EllEEvT2_PKT1_PKS2_21rocsparse_index_base_PS2_,comdat
	.globl	_ZN9rocsparseL32kernel_count_diagonal_triangularIL20rocsparse_fill_mode_0ELj1024EllEEvT2_PKT1_PKS2_21rocsparse_index_base_PS2_ ; -- Begin function _ZN9rocsparseL32kernel_count_diagonal_triangularIL20rocsparse_fill_mode_0ELj1024EllEEvT2_PKT1_PKS2_21rocsparse_index_base_PS2_
	.p2align	8
	.type	_ZN9rocsparseL32kernel_count_diagonal_triangularIL20rocsparse_fill_mode_0ELj1024EllEEvT2_PKT1_PKS2_21rocsparse_index_base_PS2_,@function
_ZN9rocsparseL32kernel_count_diagonal_triangularIL20rocsparse_fill_mode_0ELj1024EllEEvT2_PKT1_PKS2_21rocsparse_index_base_PS2_: ; @_ZN9rocsparseL32kernel_count_diagonal_triangularIL20rocsparse_fill_mode_0ELj1024EllEEvT2_PKT1_PKS2_21rocsparse_index_base_PS2_
; %bb.0:
	s_load_dwordx2 s[0:1], s[4:5], 0x0
	v_lshl_or_b32 v0, s6, 10, v0
	v_mov_b32_e32 v1, 0
	s_waitcnt lgkmcnt(0)
	v_cmp_gt_i64_e32 vcc, s[0:1], v[0:1]
	s_and_saveexec_b64 s[0:1], vcc
	s_cbranch_execz .LBB19_4
; %bb.1:
	s_load_dwordx4 s[0:3], s[4:5], 0x8
	s_load_dword s6, s[4:5], 0x18
	v_lshlrev_b64 v[2:3], 3, v[0:1]
	s_mov_b32 s7, 0
	s_waitcnt lgkmcnt(0)
	v_mov_b32_e32 v4, s1
	v_add_co_u32_e32 v2, vcc, s0, v2
	v_addc_co_u32_e32 v3, vcc, v4, v3, vcc
	global_load_dwordx2 v[2:3], v[2:3], off offset:8
	s_not_b64 s[0:1], s[6:7]
	v_mov_b32_e32 v4, s3
	s_lshl_b64 s[0:1], s[0:1], 3
	v_mov_b32_e32 v5, s1
	s_waitcnt vmcnt(0)
	v_lshlrev_b64 v[2:3], 3, v[2:3]
	v_add_co_u32_e32 v2, vcc, s2, v2
	v_addc_co_u32_e32 v3, vcc, v4, v3, vcc
	v_add_co_u32_e32 v2, vcc, s0, v2
	v_addc_co_u32_e32 v3, vcc, v3, v5, vcc
	global_load_dwordx2 v[2:3], v[2:3], off
	s_waitcnt vmcnt(0)
	v_subrev_co_u32_e32 v2, vcc, s6, v2
	v_subbrev_co_u32_e32 v3, vcc, 0, v3, vcc
	v_cmp_eq_u64_e32 vcc, v[2:3], v[0:1]
	s_and_b64 exec, exec, vcc
	s_cbranch_execz .LBB19_4
; %bb.2:
	s_mov_b64 s[0:1], exec
	v_mbcnt_lo_u32_b32 v0, s0, 0
	v_mbcnt_hi_u32_b32 v0, s1, v0
	v_cmp_eq_u32_e32 vcc, 0, v0
	s_and_b64 s[2:3], exec, vcc
	s_mov_b64 exec, s[2:3]
	s_cbranch_execz .LBB19_4
; %bb.3:
	s_load_dwordx2 s[2:3], s[4:5], 0x20
	s_bcnt1_i32_b64 s0, s[0:1]
	v_mov_b32_e32 v0, s0
	v_mov_b32_e32 v1, 0
	s_waitcnt lgkmcnt(0)
	global_atomic_add_x2 v1, v[0:1], s[2:3]
.LBB19_4:
	s_endpgm
	.section	.rodata,"a",@progbits
	.p2align	6, 0x0
	.amdhsa_kernel _ZN9rocsparseL32kernel_count_diagonal_triangularIL20rocsparse_fill_mode_0ELj1024EllEEvT2_PKT1_PKS2_21rocsparse_index_base_PS2_
		.amdhsa_group_segment_fixed_size 0
		.amdhsa_private_segment_fixed_size 0
		.amdhsa_kernarg_size 40
		.amdhsa_user_sgpr_count 6
		.amdhsa_user_sgpr_private_segment_buffer 1
		.amdhsa_user_sgpr_dispatch_ptr 0
		.amdhsa_user_sgpr_queue_ptr 0
		.amdhsa_user_sgpr_kernarg_segment_ptr 1
		.amdhsa_user_sgpr_dispatch_id 0
		.amdhsa_user_sgpr_flat_scratch_init 0
		.amdhsa_user_sgpr_private_segment_size 0
		.amdhsa_uses_dynamic_stack 0
		.amdhsa_system_sgpr_private_segment_wavefront_offset 0
		.amdhsa_system_sgpr_workgroup_id_x 1
		.amdhsa_system_sgpr_workgroup_id_y 0
		.amdhsa_system_sgpr_workgroup_id_z 0
		.amdhsa_system_sgpr_workgroup_info 0
		.amdhsa_system_vgpr_workitem_id 0
		.amdhsa_next_free_vgpr 6
		.amdhsa_next_free_sgpr 8
		.amdhsa_reserve_vcc 1
		.amdhsa_reserve_flat_scratch 0
		.amdhsa_float_round_mode_32 0
		.amdhsa_float_round_mode_16_64 0
		.amdhsa_float_denorm_mode_32 3
		.amdhsa_float_denorm_mode_16_64 3
		.amdhsa_dx10_clamp 1
		.amdhsa_ieee_mode 1
		.amdhsa_fp16_overflow 0
		.amdhsa_exception_fp_ieee_invalid_op 0
		.amdhsa_exception_fp_denorm_src 0
		.amdhsa_exception_fp_ieee_div_zero 0
		.amdhsa_exception_fp_ieee_overflow 0
		.amdhsa_exception_fp_ieee_underflow 0
		.amdhsa_exception_fp_ieee_inexact 0
		.amdhsa_exception_int_div_zero 0
	.end_amdhsa_kernel
	.section	.text._ZN9rocsparseL32kernel_count_diagonal_triangularIL20rocsparse_fill_mode_0ELj1024EllEEvT2_PKT1_PKS2_21rocsparse_index_base_PS2_,"axG",@progbits,_ZN9rocsparseL32kernel_count_diagonal_triangularIL20rocsparse_fill_mode_0ELj1024EllEEvT2_PKT1_PKS2_21rocsparse_index_base_PS2_,comdat
.Lfunc_end19:
	.size	_ZN9rocsparseL32kernel_count_diagonal_triangularIL20rocsparse_fill_mode_0ELj1024EllEEvT2_PKT1_PKS2_21rocsparse_index_base_PS2_, .Lfunc_end19-_ZN9rocsparseL32kernel_count_diagonal_triangularIL20rocsparse_fill_mode_0ELj1024EllEEvT2_PKT1_PKS2_21rocsparse_index_base_PS2_
                                        ; -- End function
	.set _ZN9rocsparseL32kernel_count_diagonal_triangularIL20rocsparse_fill_mode_0ELj1024EllEEvT2_PKT1_PKS2_21rocsparse_index_base_PS2_.num_vgpr, 6
	.set _ZN9rocsparseL32kernel_count_diagonal_triangularIL20rocsparse_fill_mode_0ELj1024EllEEvT2_PKT1_PKS2_21rocsparse_index_base_PS2_.num_agpr, 0
	.set _ZN9rocsparseL32kernel_count_diagonal_triangularIL20rocsparse_fill_mode_0ELj1024EllEEvT2_PKT1_PKS2_21rocsparse_index_base_PS2_.numbered_sgpr, 8
	.set _ZN9rocsparseL32kernel_count_diagonal_triangularIL20rocsparse_fill_mode_0ELj1024EllEEvT2_PKT1_PKS2_21rocsparse_index_base_PS2_.num_named_barrier, 0
	.set _ZN9rocsparseL32kernel_count_diagonal_triangularIL20rocsparse_fill_mode_0ELj1024EllEEvT2_PKT1_PKS2_21rocsparse_index_base_PS2_.private_seg_size, 0
	.set _ZN9rocsparseL32kernel_count_diagonal_triangularIL20rocsparse_fill_mode_0ELj1024EllEEvT2_PKT1_PKS2_21rocsparse_index_base_PS2_.uses_vcc, 1
	.set _ZN9rocsparseL32kernel_count_diagonal_triangularIL20rocsparse_fill_mode_0ELj1024EllEEvT2_PKT1_PKS2_21rocsparse_index_base_PS2_.uses_flat_scratch, 0
	.set _ZN9rocsparseL32kernel_count_diagonal_triangularIL20rocsparse_fill_mode_0ELj1024EllEEvT2_PKT1_PKS2_21rocsparse_index_base_PS2_.has_dyn_sized_stack, 0
	.set _ZN9rocsparseL32kernel_count_diagonal_triangularIL20rocsparse_fill_mode_0ELj1024EllEEvT2_PKT1_PKS2_21rocsparse_index_base_PS2_.has_recursion, 0
	.set _ZN9rocsparseL32kernel_count_diagonal_triangularIL20rocsparse_fill_mode_0ELj1024EllEEvT2_PKT1_PKS2_21rocsparse_index_base_PS2_.has_indirect_call, 0
	.section	.AMDGPU.csdata,"",@progbits
; Kernel info:
; codeLenInByte = 236
; TotalNumSgprs: 12
; NumVgprs: 6
; ScratchSize: 0
; MemoryBound: 0
; FloatMode: 240
; IeeeMode: 1
; LDSByteSize: 0 bytes/workgroup (compile time only)
; SGPRBlocks: 1
; VGPRBlocks: 1
; NumSGPRsForWavesPerEU: 12
; NumVGPRsForWavesPerEU: 6
; Occupancy: 10
; WaveLimiterHint : 1
; COMPUTE_PGM_RSRC2:SCRATCH_EN: 0
; COMPUTE_PGM_RSRC2:USER_SGPR: 6
; COMPUTE_PGM_RSRC2:TRAP_HANDLER: 0
; COMPUTE_PGM_RSRC2:TGID_X_EN: 1
; COMPUTE_PGM_RSRC2:TGID_Y_EN: 0
; COMPUTE_PGM_RSRC2:TGID_Z_EN: 0
; COMPUTE_PGM_RSRC2:TIDIG_COMP_CNT: 0
	.section	.text._ZN9rocsparseL32kernel_count_diagonal_triangularIL20rocsparse_fill_mode_1ELj1024EllEEvT2_PKT1_PKS2_21rocsparse_index_base_PS2_,"axG",@progbits,_ZN9rocsparseL32kernel_count_diagonal_triangularIL20rocsparse_fill_mode_1ELj1024EllEEvT2_PKT1_PKS2_21rocsparse_index_base_PS2_,comdat
	.globl	_ZN9rocsparseL32kernel_count_diagonal_triangularIL20rocsparse_fill_mode_1ELj1024EllEEvT2_PKT1_PKS2_21rocsparse_index_base_PS2_ ; -- Begin function _ZN9rocsparseL32kernel_count_diagonal_triangularIL20rocsparse_fill_mode_1ELj1024EllEEvT2_PKT1_PKS2_21rocsparse_index_base_PS2_
	.p2align	8
	.type	_ZN9rocsparseL32kernel_count_diagonal_triangularIL20rocsparse_fill_mode_1ELj1024EllEEvT2_PKT1_PKS2_21rocsparse_index_base_PS2_,@function
_ZN9rocsparseL32kernel_count_diagonal_triangularIL20rocsparse_fill_mode_1ELj1024EllEEvT2_PKT1_PKS2_21rocsparse_index_base_PS2_: ; @_ZN9rocsparseL32kernel_count_diagonal_triangularIL20rocsparse_fill_mode_1ELj1024EllEEvT2_PKT1_PKS2_21rocsparse_index_base_PS2_
; %bb.0:
	s_load_dwordx2 s[0:1], s[4:5], 0x0
	v_lshl_or_b32 v0, s6, 10, v0
	v_mov_b32_e32 v1, 0
	s_waitcnt lgkmcnt(0)
	v_cmp_gt_i64_e32 vcc, s[0:1], v[0:1]
	s_and_saveexec_b64 s[0:1], vcc
	s_cbranch_execz .LBB20_4
; %bb.1:
	s_load_dwordx4 s[0:3], s[4:5], 0x8
	s_load_dword s6, s[4:5], 0x18
	v_lshlrev_b64 v[2:3], 3, v[0:1]
	s_waitcnt lgkmcnt(0)
	v_mov_b32_e32 v4, s1
	v_add_co_u32_e32 v2, vcc, s0, v2
	v_addc_co_u32_e32 v3, vcc, v4, v3, vcc
	global_load_dwordx2 v[2:3], v[2:3], off
	v_mov_b32_e32 v4, s3
	s_waitcnt vmcnt(0)
	v_subrev_co_u32_e32 v2, vcc, s6, v2
	v_subbrev_co_u32_e32 v3, vcc, 0, v3, vcc
	v_lshlrev_b64 v[2:3], 3, v[2:3]
	v_add_co_u32_e32 v2, vcc, s2, v2
	v_addc_co_u32_e32 v3, vcc, v4, v3, vcc
	global_load_dwordx2 v[2:3], v[2:3], off
	s_waitcnt vmcnt(0)
	v_subrev_co_u32_e32 v2, vcc, s6, v2
	v_subbrev_co_u32_e32 v3, vcc, 0, v3, vcc
	v_cmp_eq_u64_e32 vcc, v[2:3], v[0:1]
	s_and_b64 exec, exec, vcc
	s_cbranch_execz .LBB20_4
; %bb.2:
	s_mov_b64 s[0:1], exec
	v_mbcnt_lo_u32_b32 v0, s0, 0
	v_mbcnt_hi_u32_b32 v0, s1, v0
	v_cmp_eq_u32_e32 vcc, 0, v0
	s_and_b64 s[2:3], exec, vcc
	s_mov_b64 exec, s[2:3]
	s_cbranch_execz .LBB20_4
; %bb.3:
	s_load_dwordx2 s[2:3], s[4:5], 0x20
	s_bcnt1_i32_b64 s0, s[0:1]
	v_mov_b32_e32 v0, s0
	v_mov_b32_e32 v1, 0
	s_waitcnt lgkmcnt(0)
	global_atomic_add_x2 v1, v[0:1], s[2:3]
.LBB20_4:
	s_endpgm
	.section	.rodata,"a",@progbits
	.p2align	6, 0x0
	.amdhsa_kernel _ZN9rocsparseL32kernel_count_diagonal_triangularIL20rocsparse_fill_mode_1ELj1024EllEEvT2_PKT1_PKS2_21rocsparse_index_base_PS2_
		.amdhsa_group_segment_fixed_size 0
		.amdhsa_private_segment_fixed_size 0
		.amdhsa_kernarg_size 40
		.amdhsa_user_sgpr_count 6
		.amdhsa_user_sgpr_private_segment_buffer 1
		.amdhsa_user_sgpr_dispatch_ptr 0
		.amdhsa_user_sgpr_queue_ptr 0
		.amdhsa_user_sgpr_kernarg_segment_ptr 1
		.amdhsa_user_sgpr_dispatch_id 0
		.amdhsa_user_sgpr_flat_scratch_init 0
		.amdhsa_user_sgpr_private_segment_size 0
		.amdhsa_uses_dynamic_stack 0
		.amdhsa_system_sgpr_private_segment_wavefront_offset 0
		.amdhsa_system_sgpr_workgroup_id_x 1
		.amdhsa_system_sgpr_workgroup_id_y 0
		.amdhsa_system_sgpr_workgroup_id_z 0
		.amdhsa_system_sgpr_workgroup_info 0
		.amdhsa_system_vgpr_workitem_id 0
		.amdhsa_next_free_vgpr 5
		.amdhsa_next_free_sgpr 7
		.amdhsa_reserve_vcc 1
		.amdhsa_reserve_flat_scratch 0
		.amdhsa_float_round_mode_32 0
		.amdhsa_float_round_mode_16_64 0
		.amdhsa_float_denorm_mode_32 3
		.amdhsa_float_denorm_mode_16_64 3
		.amdhsa_dx10_clamp 1
		.amdhsa_ieee_mode 1
		.amdhsa_fp16_overflow 0
		.amdhsa_exception_fp_ieee_invalid_op 0
		.amdhsa_exception_fp_denorm_src 0
		.amdhsa_exception_fp_ieee_div_zero 0
		.amdhsa_exception_fp_ieee_overflow 0
		.amdhsa_exception_fp_ieee_underflow 0
		.amdhsa_exception_fp_ieee_inexact 0
		.amdhsa_exception_int_div_zero 0
	.end_amdhsa_kernel
	.section	.text._ZN9rocsparseL32kernel_count_diagonal_triangularIL20rocsparse_fill_mode_1ELj1024EllEEvT2_PKT1_PKS2_21rocsparse_index_base_PS2_,"axG",@progbits,_ZN9rocsparseL32kernel_count_diagonal_triangularIL20rocsparse_fill_mode_1ELj1024EllEEvT2_PKT1_PKS2_21rocsparse_index_base_PS2_,comdat
.Lfunc_end20:
	.size	_ZN9rocsparseL32kernel_count_diagonal_triangularIL20rocsparse_fill_mode_1ELj1024EllEEvT2_PKT1_PKS2_21rocsparse_index_base_PS2_, .Lfunc_end20-_ZN9rocsparseL32kernel_count_diagonal_triangularIL20rocsparse_fill_mode_1ELj1024EllEEvT2_PKT1_PKS2_21rocsparse_index_base_PS2_
                                        ; -- End function
	.set _ZN9rocsparseL32kernel_count_diagonal_triangularIL20rocsparse_fill_mode_1ELj1024EllEEvT2_PKT1_PKS2_21rocsparse_index_base_PS2_.num_vgpr, 5
	.set _ZN9rocsparseL32kernel_count_diagonal_triangularIL20rocsparse_fill_mode_1ELj1024EllEEvT2_PKT1_PKS2_21rocsparse_index_base_PS2_.num_agpr, 0
	.set _ZN9rocsparseL32kernel_count_diagonal_triangularIL20rocsparse_fill_mode_1ELj1024EllEEvT2_PKT1_PKS2_21rocsparse_index_base_PS2_.numbered_sgpr, 7
	.set _ZN9rocsparseL32kernel_count_diagonal_triangularIL20rocsparse_fill_mode_1ELj1024EllEEvT2_PKT1_PKS2_21rocsparse_index_base_PS2_.num_named_barrier, 0
	.set _ZN9rocsparseL32kernel_count_diagonal_triangularIL20rocsparse_fill_mode_1ELj1024EllEEvT2_PKT1_PKS2_21rocsparse_index_base_PS2_.private_seg_size, 0
	.set _ZN9rocsparseL32kernel_count_diagonal_triangularIL20rocsparse_fill_mode_1ELj1024EllEEvT2_PKT1_PKS2_21rocsparse_index_base_PS2_.uses_vcc, 1
	.set _ZN9rocsparseL32kernel_count_diagonal_triangularIL20rocsparse_fill_mode_1ELj1024EllEEvT2_PKT1_PKS2_21rocsparse_index_base_PS2_.uses_flat_scratch, 0
	.set _ZN9rocsparseL32kernel_count_diagonal_triangularIL20rocsparse_fill_mode_1ELj1024EllEEvT2_PKT1_PKS2_21rocsparse_index_base_PS2_.has_dyn_sized_stack, 0
	.set _ZN9rocsparseL32kernel_count_diagonal_triangularIL20rocsparse_fill_mode_1ELj1024EllEEvT2_PKT1_PKS2_21rocsparse_index_base_PS2_.has_recursion, 0
	.set _ZN9rocsparseL32kernel_count_diagonal_triangularIL20rocsparse_fill_mode_1ELj1024EllEEvT2_PKT1_PKS2_21rocsparse_index_base_PS2_.has_indirect_call, 0
	.section	.AMDGPU.csdata,"",@progbits
; Kernel info:
; codeLenInByte = 220
; TotalNumSgprs: 11
; NumVgprs: 5
; ScratchSize: 0
; MemoryBound: 0
; FloatMode: 240
; IeeeMode: 1
; LDSByteSize: 0 bytes/workgroup (compile time only)
; SGPRBlocks: 1
; VGPRBlocks: 1
; NumSGPRsForWavesPerEU: 11
; NumVGPRsForWavesPerEU: 5
; Occupancy: 10
; WaveLimiterHint : 1
; COMPUTE_PGM_RSRC2:SCRATCH_EN: 0
; COMPUTE_PGM_RSRC2:USER_SGPR: 6
; COMPUTE_PGM_RSRC2:TRAP_HANDLER: 0
; COMPUTE_PGM_RSRC2:TGID_X_EN: 1
; COMPUTE_PGM_RSRC2:TGID_Y_EN: 0
; COMPUTE_PGM_RSRC2:TGID_Z_EN: 0
; COMPUTE_PGM_RSRC2:TIDIG_COMP_CNT: 0
	.section	.AMDGPU.gpr_maximums,"",@progbits
	.set amdgpu.max_num_vgpr, 0
	.set amdgpu.max_num_agpr, 0
	.set amdgpu.max_num_sgpr, 0
	.section	.AMDGPU.csdata,"",@progbits
	.type	__hip_cuid_6dde3811dfa6fad2,@object ; @__hip_cuid_6dde3811dfa6fad2
	.section	.bss,"aw",@nobits
	.globl	__hip_cuid_6dde3811dfa6fad2
__hip_cuid_6dde3811dfa6fad2:
	.byte	0                               ; 0x0
	.size	__hip_cuid_6dde3811dfa6fad2, 1

	.ident	"AMD clang version 22.0.0git (https://github.com/RadeonOpenCompute/llvm-project roc-7.2.4 26084 f58b06dce1f9c15707c5f808fd002e18c2accf7e)"
	.section	".note.GNU-stack","",@progbits
	.addrsig
	.addrsig_sym __hip_cuid_6dde3811dfa6fad2
	.amdgpu_metadata
---
amdhsa.kernels:
  - .args:
      - .offset:         0
        .size:           4
        .value_kind:     by_value
      - .actual_access:  read_only
        .address_space:  global
        .offset:         8
        .size:           8
        .value_kind:     global_buffer
      - .actual_access:  read_only
        .address_space:  global
        .offset:         16
        .size:           8
        .value_kind:     global_buffer
      - .actual_access:  write_only
        .address_space:  global
        .offset:         24
        .size:           8
        .value_kind:     global_buffer
      - .offset:         32
        .size:           4
        .value_kind:     by_value
    .group_segment_fixed_size: 0
    .kernarg_segment_align: 8
    .kernarg_segment_size: 36
    .language:       OpenCL C
    .language_version:
      - 2
      - 0
    .max_flat_workgroup_size: 1024
    .name:           _ZN9rocsparseL19kernel_ptr_end_unitILj1024EiiEEvT1_PKT0_PKS1_PS2_21rocsparse_index_base_
    .private_segment_fixed_size: 0
    .sgpr_count:     18
    .sgpr_spill_count: 0
    .symbol:         _ZN9rocsparseL19kernel_ptr_end_unitILj1024EiiEEvT1_PKT0_PKS1_PS2_21rocsparse_index_base_.kd
    .uniform_work_group_size: 1
    .uses_dynamic_stack: false
    .vgpr_count:     9
    .vgpr_spill_count: 0
    .wavefront_size: 64
  - .args:
      - .offset:         0
        .size:           4
        .value_kind:     by_value
      - .actual_access:  read_only
        .address_space:  global
        .offset:         8
        .size:           8
        .value_kind:     global_buffer
      - .actual_access:  read_only
        .address_space:  global
        .offset:         16
        .size:           8
        .value_kind:     global_buffer
      - .actual_access:  write_only
        .address_space:  global
        .offset:         24
        .size:           8
        .value_kind:     global_buffer
      - .offset:         32
        .size:           4
        .value_kind:     by_value
    .group_segment_fixed_size: 0
    .kernarg_segment_align: 8
    .kernarg_segment_size: 36
    .language:       OpenCL C
    .language_version:
      - 2
      - 0
    .max_flat_workgroup_size: 1024
    .name:           _ZN9rocsparseL23kernel_ptr_end_non_unitILj1024EiiEEvT1_PKT0_PKS1_PS2_21rocsparse_index_base_
    .private_segment_fixed_size: 0
    .sgpr_count:     18
    .sgpr_spill_count: 0
    .symbol:         _ZN9rocsparseL23kernel_ptr_end_non_unitILj1024EiiEEvT1_PKT0_PKS1_PS2_21rocsparse_index_base_.kd
    .uniform_work_group_size: 1
    .uses_dynamic_stack: false
    .vgpr_count:     9
    .vgpr_spill_count: 0
    .wavefront_size: 64
  - .args:
      - .offset:         0
        .size:           4
        .value_kind:     by_value
      - .actual_access:  read_only
        .address_space:  global
        .offset:         8
        .size:           8
        .value_kind:     global_buffer
      - .offset:         16
        .size:           4
        .value_kind:     by_value
      - .actual_access:  read_only
        .address_space:  global
        .offset:         24
        .size:           8
        .value_kind:     global_buffer
      - .offset:         32
        .size:           4
        .value_kind:     by_value
      - .address_space:  global
        .offset:         40
        .size:           8
        .value_kind:     global_buffer
      - .address_space:  global
        .offset:         48
        .size:           8
        .value_kind:     global_buffer
    .group_segment_fixed_size: 0
    .kernarg_segment_align: 8
    .kernarg_segment_size: 56
    .language:       OpenCL C
    .language_version:
      - 2
      - 0
    .max_flat_workgroup_size: 1024
    .name:           _ZN9rocsparseL29kernel_count_missing_diagonalILj1024EiiEEvT1_PKT0_S1_PKS1_21rocsparse_index_base_PS1_Pi
    .private_segment_fixed_size: 0
    .sgpr_count:     14
    .sgpr_spill_count: 0
    .symbol:         _ZN9rocsparseL29kernel_count_missing_diagonalILj1024EiiEEvT1_PKT0_S1_PKS1_21rocsparse_index_base_PS1_Pi.kd
    .uniform_work_group_size: 1
    .uses_dynamic_stack: false
    .vgpr_count:     4
    .vgpr_spill_count: 0
    .wavefront_size: 64
  - .args:
      - .offset:         0
        .size:           4
        .value_kind:     by_value
      - .actual_access:  read_only
        .address_space:  global
        .offset:         8
        .size:           8
        .value_kind:     global_buffer
      - .actual_access:  read_only
        .address_space:  global
        .offset:         16
        .size:           8
        .value_kind:     global_buffer
      - .offset:         24
        .size:           4
        .value_kind:     by_value
      - .address_space:  global
        .offset:         32
        .size:           8
        .value_kind:     global_buffer
      - .address_space:  global
        .offset:         40
        .size:           8
        .value_kind:     global_buffer
    .group_segment_fixed_size: 0
    .kernarg_segment_align: 8
    .kernarg_segment_size: 48
    .language:       OpenCL C
    .language_version:
      - 2
      - 0
    .max_flat_workgroup_size: 1024
    .name:           _ZN9rocsparseL30kernel_count_missing_diagonal2IL20rocsparse_fill_mode_0ELj1024EiiEEvT2_PKT1_PKS2_21rocsparse_index_base_PS2_Pi
    .private_segment_fixed_size: 0
    .sgpr_count:     14
    .sgpr_spill_count: 0
    .symbol:         _ZN9rocsparseL30kernel_count_missing_diagonal2IL20rocsparse_fill_mode_0ELj1024EiiEEvT2_PKT1_PKS2_21rocsparse_index_base_PS2_Pi.kd
    .uniform_work_group_size: 1
    .uses_dynamic_stack: false
    .vgpr_count:     4
    .vgpr_spill_count: 0
    .wavefront_size: 64
  - .args:
      - .offset:         0
        .size:           4
        .value_kind:     by_value
      - .actual_access:  read_only
        .address_space:  global
        .offset:         8
        .size:           8
        .value_kind:     global_buffer
      - .actual_access:  read_only
        .address_space:  global
        .offset:         16
        .size:           8
        .value_kind:     global_buffer
      - .offset:         24
        .size:           4
        .value_kind:     by_value
      - .address_space:  global
        .offset:         32
        .size:           8
        .value_kind:     global_buffer
      - .address_space:  global
        .offset:         40
        .size:           8
        .value_kind:     global_buffer
    .group_segment_fixed_size: 0
    .kernarg_segment_align: 8
    .kernarg_segment_size: 48
    .language:       OpenCL C
    .language_version:
      - 2
      - 0
    .max_flat_workgroup_size: 1024
    .name:           _ZN9rocsparseL30kernel_count_missing_diagonal2IL20rocsparse_fill_mode_1ELj1024EiiEEvT2_PKT1_PKS2_21rocsparse_index_base_PS2_Pi
    .private_segment_fixed_size: 0
    .sgpr_count:     14
    .sgpr_spill_count: 0
    .symbol:         _ZN9rocsparseL30kernel_count_missing_diagonal2IL20rocsparse_fill_mode_1ELj1024EiiEEvT2_PKT1_PKS2_21rocsparse_index_base_PS2_Pi.kd
    .uniform_work_group_size: 1
    .uses_dynamic_stack: false
    .vgpr_count:     4
    .vgpr_spill_count: 0
    .wavefront_size: 64
  - .args:
      - .offset:         0
        .size:           4
        .value_kind:     by_value
      - .actual_access:  read_only
        .address_space:  global
        .offset:         8
        .size:           8
        .value_kind:     global_buffer
      - .actual_access:  read_only
        .address_space:  global
        .offset:         16
        .size:           8
        .value_kind:     global_buffer
      - .offset:         24
        .size:           4
        .value_kind:     by_value
      - .address_space:  global
        .offset:         32
        .size:           8
        .value_kind:     global_buffer
    .group_segment_fixed_size: 0
    .kernarg_segment_align: 8
    .kernarg_segment_size: 40
    .language:       OpenCL C
    .language_version:
      - 2
      - 0
    .max_flat_workgroup_size: 1024
    .name:           _ZN9rocsparseL32kernel_count_diagonal_triangularIL20rocsparse_fill_mode_0ELj1024EiiEEvT2_PKT1_PKS2_21rocsparse_index_base_PS2_
    .private_segment_fixed_size: 0
    .sgpr_count:     11
    .sgpr_spill_count: 0
    .symbol:         _ZN9rocsparseL32kernel_count_diagonal_triangularIL20rocsparse_fill_mode_0ELj1024EiiEEvT2_PKT1_PKS2_21rocsparse_index_base_PS2_.kd
    .uniform_work_group_size: 1
    .uses_dynamic_stack: false
    .vgpr_count:     4
    .vgpr_spill_count: 0
    .wavefront_size: 64
  - .args:
      - .offset:         0
        .size:           4
        .value_kind:     by_value
      - .actual_access:  read_only
        .address_space:  global
        .offset:         8
        .size:           8
        .value_kind:     global_buffer
      - .actual_access:  read_only
        .address_space:  global
        .offset:         16
        .size:           8
        .value_kind:     global_buffer
      - .offset:         24
        .size:           4
        .value_kind:     by_value
      - .address_space:  global
        .offset:         32
        .size:           8
        .value_kind:     global_buffer
    .group_segment_fixed_size: 0
    .kernarg_segment_align: 8
    .kernarg_segment_size: 40
    .language:       OpenCL C
    .language_version:
      - 2
      - 0
    .max_flat_workgroup_size: 1024
    .name:           _ZN9rocsparseL32kernel_count_diagonal_triangularIL20rocsparse_fill_mode_1ELj1024EiiEEvT2_PKT1_PKS2_21rocsparse_index_base_PS2_
    .private_segment_fixed_size: 0
    .sgpr_count:     11
    .sgpr_spill_count: 0
    .symbol:         _ZN9rocsparseL32kernel_count_diagonal_triangularIL20rocsparse_fill_mode_1ELj1024EiiEEvT2_PKT1_PKS2_21rocsparse_index_base_PS2_.kd
    .uniform_work_group_size: 1
    .uses_dynamic_stack: false
    .vgpr_count:     4
    .vgpr_spill_count: 0
    .wavefront_size: 64
  - .args:
      - .offset:         0
        .size:           4
        .value_kind:     by_value
      - .actual_access:  read_only
        .address_space:  global
        .offset:         8
        .size:           8
        .value_kind:     global_buffer
      - .actual_access:  read_only
        .address_space:  global
        .offset:         16
        .size:           8
        .value_kind:     global_buffer
      - .actual_access:  write_only
        .address_space:  global
        .offset:         24
        .size:           8
        .value_kind:     global_buffer
      - .offset:         32
        .size:           4
        .value_kind:     by_value
    .group_segment_fixed_size: 0
    .kernarg_segment_align: 8
    .kernarg_segment_size: 36
    .language:       OpenCL C
    .language_version:
      - 2
      - 0
    .max_flat_workgroup_size: 1024
    .name:           _ZN9rocsparseL19kernel_ptr_end_unitILj1024EliEEvT1_PKT0_PKS1_PS2_21rocsparse_index_base_
    .private_segment_fixed_size: 0
    .sgpr_count:     18
    .sgpr_spill_count: 0
    .symbol:         _ZN9rocsparseL19kernel_ptr_end_unitILj1024EliEEvT1_PKT0_PKS1_PS2_21rocsparse_index_base_.kd
    .uniform_work_group_size: 1
    .uses_dynamic_stack: false
    .vgpr_count:     12
    .vgpr_spill_count: 0
    .wavefront_size: 64
  - .args:
      - .offset:         0
        .size:           4
        .value_kind:     by_value
      - .actual_access:  read_only
        .address_space:  global
        .offset:         8
        .size:           8
        .value_kind:     global_buffer
      - .actual_access:  read_only
        .address_space:  global
        .offset:         16
        .size:           8
        .value_kind:     global_buffer
      - .actual_access:  write_only
        .address_space:  global
        .offset:         24
        .size:           8
        .value_kind:     global_buffer
      - .offset:         32
        .size:           4
        .value_kind:     by_value
    .group_segment_fixed_size: 0
    .kernarg_segment_align: 8
    .kernarg_segment_size: 36
    .language:       OpenCL C
    .language_version:
      - 2
      - 0
    .max_flat_workgroup_size: 1024
    .name:           _ZN9rocsparseL23kernel_ptr_end_non_unitILj1024EliEEvT1_PKT0_PKS1_PS2_21rocsparse_index_base_
    .private_segment_fixed_size: 0
    .sgpr_count:     18
    .sgpr_spill_count: 0
    .symbol:         _ZN9rocsparseL23kernel_ptr_end_non_unitILj1024EliEEvT1_PKT0_PKS1_PS2_21rocsparse_index_base_.kd
    .uniform_work_group_size: 1
    .uses_dynamic_stack: false
    .vgpr_count:     12
    .vgpr_spill_count: 0
    .wavefront_size: 64
  - .args:
      - .offset:         0
        .size:           4
        .value_kind:     by_value
      - .actual_access:  read_only
        .address_space:  global
        .offset:         8
        .size:           8
        .value_kind:     global_buffer
      - .offset:         16
        .size:           4
        .value_kind:     by_value
      - .actual_access:  read_only
        .address_space:  global
        .offset:         24
        .size:           8
        .value_kind:     global_buffer
      - .offset:         32
        .size:           4
        .value_kind:     by_value
      - .address_space:  global
        .offset:         40
        .size:           8
        .value_kind:     global_buffer
      - .address_space:  global
        .offset:         48
        .size:           8
        .value_kind:     global_buffer
    .group_segment_fixed_size: 0
    .kernarg_segment_align: 8
    .kernarg_segment_size: 56
    .language:       OpenCL C
    .language_version:
      - 2
      - 0
    .max_flat_workgroup_size: 1024
    .name:           _ZN9rocsparseL29kernel_count_missing_diagonalILj1024EliEEvT1_PKT0_S1_PKS1_21rocsparse_index_base_PS1_Pi
    .private_segment_fixed_size: 0
    .sgpr_count:     14
    .sgpr_spill_count: 0
    .symbol:         _ZN9rocsparseL29kernel_count_missing_diagonalILj1024EliEEvT1_PKT0_S1_PKS1_21rocsparse_index_base_PS1_Pi.kd
    .uniform_work_group_size: 1
    .uses_dynamic_stack: false
    .vgpr_count:     5
    .vgpr_spill_count: 0
    .wavefront_size: 64
  - .args:
      - .offset:         0
        .size:           4
        .value_kind:     by_value
      - .actual_access:  read_only
        .address_space:  global
        .offset:         8
        .size:           8
        .value_kind:     global_buffer
      - .actual_access:  read_only
        .address_space:  global
        .offset:         16
        .size:           8
        .value_kind:     global_buffer
      - .offset:         24
        .size:           4
        .value_kind:     by_value
      - .address_space:  global
        .offset:         32
        .size:           8
        .value_kind:     global_buffer
      - .address_space:  global
        .offset:         40
        .size:           8
        .value_kind:     global_buffer
    .group_segment_fixed_size: 0
    .kernarg_segment_align: 8
    .kernarg_segment_size: 48
    .language:       OpenCL C
    .language_version:
      - 2
      - 0
    .max_flat_workgroup_size: 1024
    .name:           _ZN9rocsparseL30kernel_count_missing_diagonal2IL20rocsparse_fill_mode_0ELj1024EliEEvT2_PKT1_PKS2_21rocsparse_index_base_PS2_Pi
    .private_segment_fixed_size: 0
    .sgpr_count:     14
    .sgpr_spill_count: 0
    .symbol:         _ZN9rocsparseL30kernel_count_missing_diagonal2IL20rocsparse_fill_mode_0ELj1024EliEEvT2_PKT1_PKS2_21rocsparse_index_base_PS2_Pi.kd
    .uniform_work_group_size: 1
    .uses_dynamic_stack: false
    .vgpr_count:     5
    .vgpr_spill_count: 0
    .wavefront_size: 64
  - .args:
      - .offset:         0
        .size:           4
        .value_kind:     by_value
      - .actual_access:  read_only
        .address_space:  global
        .offset:         8
        .size:           8
        .value_kind:     global_buffer
      - .actual_access:  read_only
        .address_space:  global
        .offset:         16
        .size:           8
        .value_kind:     global_buffer
      - .offset:         24
        .size:           4
        .value_kind:     by_value
      - .address_space:  global
        .offset:         32
        .size:           8
        .value_kind:     global_buffer
      - .address_space:  global
        .offset:         40
        .size:           8
        .value_kind:     global_buffer
    .group_segment_fixed_size: 0
    .kernarg_segment_align: 8
    .kernarg_segment_size: 48
    .language:       OpenCL C
    .language_version:
      - 2
      - 0
    .max_flat_workgroup_size: 1024
    .name:           _ZN9rocsparseL30kernel_count_missing_diagonal2IL20rocsparse_fill_mode_1ELj1024EliEEvT2_PKT1_PKS2_21rocsparse_index_base_PS2_Pi
    .private_segment_fixed_size: 0
    .sgpr_count:     14
    .sgpr_spill_count: 0
    .symbol:         _ZN9rocsparseL30kernel_count_missing_diagonal2IL20rocsparse_fill_mode_1ELj1024EliEEvT2_PKT1_PKS2_21rocsparse_index_base_PS2_Pi.kd
    .uniform_work_group_size: 1
    .uses_dynamic_stack: false
    .vgpr_count:     4
    .vgpr_spill_count: 0
    .wavefront_size: 64
  - .args:
      - .offset:         0
        .size:           4
        .value_kind:     by_value
      - .actual_access:  read_only
        .address_space:  global
        .offset:         8
        .size:           8
        .value_kind:     global_buffer
      - .actual_access:  read_only
        .address_space:  global
        .offset:         16
        .size:           8
        .value_kind:     global_buffer
      - .offset:         24
        .size:           4
        .value_kind:     by_value
      - .address_space:  global
        .offset:         32
        .size:           8
        .value_kind:     global_buffer
    .group_segment_fixed_size: 0
    .kernarg_segment_align: 8
    .kernarg_segment_size: 40
    .language:       OpenCL C
    .language_version:
      - 2
      - 0
    .max_flat_workgroup_size: 1024
    .name:           _ZN9rocsparseL32kernel_count_diagonal_triangularIL20rocsparse_fill_mode_0ELj1024EliEEvT2_PKT1_PKS2_21rocsparse_index_base_PS2_
    .private_segment_fixed_size: 0
    .sgpr_count:     12
    .sgpr_spill_count: 0
    .symbol:         _ZN9rocsparseL32kernel_count_diagonal_triangularIL20rocsparse_fill_mode_0ELj1024EliEEvT2_PKT1_PKS2_21rocsparse_index_base_PS2_.kd
    .uniform_work_group_size: 1
    .uses_dynamic_stack: false
    .vgpr_count:     5
    .vgpr_spill_count: 0
    .wavefront_size: 64
  - .args:
      - .offset:         0
        .size:           4
        .value_kind:     by_value
      - .actual_access:  read_only
        .address_space:  global
        .offset:         8
        .size:           8
        .value_kind:     global_buffer
      - .actual_access:  read_only
        .address_space:  global
        .offset:         16
        .size:           8
        .value_kind:     global_buffer
      - .offset:         24
        .size:           4
        .value_kind:     by_value
      - .address_space:  global
        .offset:         32
        .size:           8
        .value_kind:     global_buffer
    .group_segment_fixed_size: 0
    .kernarg_segment_align: 8
    .kernarg_segment_size: 40
    .language:       OpenCL C
    .language_version:
      - 2
      - 0
    .max_flat_workgroup_size: 1024
    .name:           _ZN9rocsparseL32kernel_count_diagonal_triangularIL20rocsparse_fill_mode_1ELj1024EliEEvT2_PKT1_PKS2_21rocsparse_index_base_PS2_
    .private_segment_fixed_size: 0
    .sgpr_count:     11
    .sgpr_spill_count: 0
    .symbol:         _ZN9rocsparseL32kernel_count_diagonal_triangularIL20rocsparse_fill_mode_1ELj1024EliEEvT2_PKT1_PKS2_21rocsparse_index_base_PS2_.kd
    .uniform_work_group_size: 1
    .uses_dynamic_stack: false
    .vgpr_count:     4
    .vgpr_spill_count: 0
    .wavefront_size: 64
  - .args:
      - .offset:         0
        .size:           8
        .value_kind:     by_value
      - .actual_access:  read_only
        .address_space:  global
        .offset:         8
        .size:           8
        .value_kind:     global_buffer
      - .actual_access:  read_only
        .address_space:  global
        .offset:         16
        .size:           8
        .value_kind:     global_buffer
      - .actual_access:  write_only
        .address_space:  global
        .offset:         24
        .size:           8
        .value_kind:     global_buffer
      - .offset:         32
        .size:           4
        .value_kind:     by_value
    .group_segment_fixed_size: 0
    .kernarg_segment_align: 8
    .kernarg_segment_size: 36
    .language:       OpenCL C
    .language_version:
      - 2
      - 0
    .max_flat_workgroup_size: 1024
    .name:           _ZN9rocsparseL19kernel_ptr_end_unitILj1024EllEEvT1_PKT0_PKS1_PS2_21rocsparse_index_base_
    .private_segment_fixed_size: 0
    .sgpr_count:     18
    .sgpr_spill_count: 0
    .symbol:         _ZN9rocsparseL19kernel_ptr_end_unitILj1024EllEEvT1_PKT0_PKS1_PS2_21rocsparse_index_base_.kd
    .uniform_work_group_size: 1
    .uses_dynamic_stack: false
    .vgpr_count:     14
    .vgpr_spill_count: 0
    .wavefront_size: 64
  - .args:
      - .offset:         0
        .size:           8
        .value_kind:     by_value
      - .actual_access:  read_only
        .address_space:  global
        .offset:         8
        .size:           8
        .value_kind:     global_buffer
      - .actual_access:  read_only
        .address_space:  global
        .offset:         16
        .size:           8
        .value_kind:     global_buffer
      - .actual_access:  write_only
        .address_space:  global
        .offset:         24
        .size:           8
        .value_kind:     global_buffer
      - .offset:         32
        .size:           4
        .value_kind:     by_value
    .group_segment_fixed_size: 0
    .kernarg_segment_align: 8
    .kernarg_segment_size: 36
    .language:       OpenCL C
    .language_version:
      - 2
      - 0
    .max_flat_workgroup_size: 1024
    .name:           _ZN9rocsparseL23kernel_ptr_end_non_unitILj1024EllEEvT1_PKT0_PKS1_PS2_21rocsparse_index_base_
    .private_segment_fixed_size: 0
    .sgpr_count:     18
    .sgpr_spill_count: 0
    .symbol:         _ZN9rocsparseL23kernel_ptr_end_non_unitILj1024EllEEvT1_PKT0_PKS1_PS2_21rocsparse_index_base_.kd
    .uniform_work_group_size: 1
    .uses_dynamic_stack: false
    .vgpr_count:     14
    .vgpr_spill_count: 0
    .wavefront_size: 64
  - .args:
      - .offset:         0
        .size:           8
        .value_kind:     by_value
      - .actual_access:  read_only
        .address_space:  global
        .offset:         8
        .size:           8
        .value_kind:     global_buffer
      - .offset:         16
        .size:           8
        .value_kind:     by_value
      - .actual_access:  read_only
        .address_space:  global
        .offset:         24
        .size:           8
        .value_kind:     global_buffer
      - .offset:         32
        .size:           4
        .value_kind:     by_value
      - .address_space:  global
        .offset:         40
        .size:           8
        .value_kind:     global_buffer
      - .address_space:  global
        .offset:         48
        .size:           8
        .value_kind:     global_buffer
    .group_segment_fixed_size: 0
    .kernarg_segment_align: 8
    .kernarg_segment_size: 56
    .language:       OpenCL C
    .language_version:
      - 2
      - 0
    .max_flat_workgroup_size: 1024
    .name:           _ZN9rocsparseL29kernel_count_missing_diagonalILj1024EllEEvT1_PKT0_S1_PKS1_21rocsparse_index_base_PS1_Pi
    .private_segment_fixed_size: 0
    .sgpr_count:     14
    .sgpr_spill_count: 0
    .symbol:         _ZN9rocsparseL29kernel_count_missing_diagonalILj1024EllEEvT1_PKT0_S1_PKS1_21rocsparse_index_base_PS1_Pi.kd
    .uniform_work_group_size: 1
    .uses_dynamic_stack: false
    .vgpr_count:     6
    .vgpr_spill_count: 0
    .wavefront_size: 64
  - .args:
      - .offset:         0
        .size:           8
        .value_kind:     by_value
      - .actual_access:  read_only
        .address_space:  global
        .offset:         8
        .size:           8
        .value_kind:     global_buffer
      - .actual_access:  read_only
        .address_space:  global
        .offset:         16
        .size:           8
        .value_kind:     global_buffer
      - .offset:         24
        .size:           4
        .value_kind:     by_value
      - .address_space:  global
        .offset:         32
        .size:           8
        .value_kind:     global_buffer
      - .address_space:  global
        .offset:         40
        .size:           8
        .value_kind:     global_buffer
    .group_segment_fixed_size: 0
    .kernarg_segment_align: 8
    .kernarg_segment_size: 48
    .language:       OpenCL C
    .language_version:
      - 2
      - 0
    .max_flat_workgroup_size: 1024
    .name:           _ZN9rocsparseL30kernel_count_missing_diagonal2IL20rocsparse_fill_mode_0ELj1024EllEEvT2_PKT1_PKS2_21rocsparse_index_base_PS2_Pi
    .private_segment_fixed_size: 0
    .sgpr_count:     14
    .sgpr_spill_count: 0
    .symbol:         _ZN9rocsparseL30kernel_count_missing_diagonal2IL20rocsparse_fill_mode_0ELj1024EllEEvT2_PKT1_PKS2_21rocsparse_index_base_PS2_Pi.kd
    .uniform_work_group_size: 1
    .uses_dynamic_stack: false
    .vgpr_count:     6
    .vgpr_spill_count: 0
    .wavefront_size: 64
  - .args:
      - .offset:         0
        .size:           8
        .value_kind:     by_value
      - .actual_access:  read_only
        .address_space:  global
        .offset:         8
        .size:           8
        .value_kind:     global_buffer
      - .actual_access:  read_only
        .address_space:  global
        .offset:         16
        .size:           8
        .value_kind:     global_buffer
      - .offset:         24
        .size:           4
        .value_kind:     by_value
      - .address_space:  global
        .offset:         32
        .size:           8
        .value_kind:     global_buffer
      - .address_space:  global
        .offset:         40
        .size:           8
        .value_kind:     global_buffer
    .group_segment_fixed_size: 0
    .kernarg_segment_align: 8
    .kernarg_segment_size: 48
    .language:       OpenCL C
    .language_version:
      - 2
      - 0
    .max_flat_workgroup_size: 1024
    .name:           _ZN9rocsparseL30kernel_count_missing_diagonal2IL20rocsparse_fill_mode_1ELj1024EllEEvT2_PKT1_PKS2_21rocsparse_index_base_PS2_Pi
    .private_segment_fixed_size: 0
    .sgpr_count:     14
    .sgpr_spill_count: 0
    .symbol:         _ZN9rocsparseL30kernel_count_missing_diagonal2IL20rocsparse_fill_mode_1ELj1024EllEEvT2_PKT1_PKS2_21rocsparse_index_base_PS2_Pi.kd
    .uniform_work_group_size: 1
    .uses_dynamic_stack: false
    .vgpr_count:     5
    .vgpr_spill_count: 0
    .wavefront_size: 64
  - .args:
      - .offset:         0
        .size:           8
        .value_kind:     by_value
      - .actual_access:  read_only
        .address_space:  global
        .offset:         8
        .size:           8
        .value_kind:     global_buffer
      - .actual_access:  read_only
        .address_space:  global
        .offset:         16
        .size:           8
        .value_kind:     global_buffer
      - .offset:         24
        .size:           4
        .value_kind:     by_value
      - .address_space:  global
        .offset:         32
        .size:           8
        .value_kind:     global_buffer
    .group_segment_fixed_size: 0
    .kernarg_segment_align: 8
    .kernarg_segment_size: 40
    .language:       OpenCL C
    .language_version:
      - 2
      - 0
    .max_flat_workgroup_size: 1024
    .name:           _ZN9rocsparseL32kernel_count_diagonal_triangularIL20rocsparse_fill_mode_0ELj1024EllEEvT2_PKT1_PKS2_21rocsparse_index_base_PS2_
    .private_segment_fixed_size: 0
    .sgpr_count:     12
    .sgpr_spill_count: 0
    .symbol:         _ZN9rocsparseL32kernel_count_diagonal_triangularIL20rocsparse_fill_mode_0ELj1024EllEEvT2_PKT1_PKS2_21rocsparse_index_base_PS2_.kd
    .uniform_work_group_size: 1
    .uses_dynamic_stack: false
    .vgpr_count:     6
    .vgpr_spill_count: 0
    .wavefront_size: 64
  - .args:
      - .offset:         0
        .size:           8
        .value_kind:     by_value
      - .actual_access:  read_only
        .address_space:  global
        .offset:         8
        .size:           8
        .value_kind:     global_buffer
      - .actual_access:  read_only
        .address_space:  global
        .offset:         16
        .size:           8
        .value_kind:     global_buffer
      - .offset:         24
        .size:           4
        .value_kind:     by_value
      - .address_space:  global
        .offset:         32
        .size:           8
        .value_kind:     global_buffer
    .group_segment_fixed_size: 0
    .kernarg_segment_align: 8
    .kernarg_segment_size: 40
    .language:       OpenCL C
    .language_version:
      - 2
      - 0
    .max_flat_workgroup_size: 1024
    .name:           _ZN9rocsparseL32kernel_count_diagonal_triangularIL20rocsparse_fill_mode_1ELj1024EllEEvT2_PKT1_PKS2_21rocsparse_index_base_PS2_
    .private_segment_fixed_size: 0
    .sgpr_count:     11
    .sgpr_spill_count: 0
    .symbol:         _ZN9rocsparseL32kernel_count_diagonal_triangularIL20rocsparse_fill_mode_1ELj1024EllEEvT2_PKT1_PKS2_21rocsparse_index_base_PS2_.kd
    .uniform_work_group_size: 1
    .uses_dynamic_stack: false
    .vgpr_count:     5
    .vgpr_spill_count: 0
    .wavefront_size: 64
amdhsa.target:   amdgcn-amd-amdhsa--gfx906
amdhsa.version:
  - 1
  - 2
...

	.end_amdgpu_metadata
